;; amdgpu-corpus repo=ROCm/rocFFT kind=compiled arch=gfx906 opt=O3
	.text
	.amdgcn_target "amdgcn-amd-amdhsa--gfx906"
	.amdhsa_code_object_version 6
	.protected	fft_rtc_fwd_len1755_factors_13_3_3_3_5_wgs_117_tpt_117_halfLds_half_op_CI_CI_sbrr_dirReg ; -- Begin function fft_rtc_fwd_len1755_factors_13_3_3_3_5_wgs_117_tpt_117_halfLds_half_op_CI_CI_sbrr_dirReg
	.globl	fft_rtc_fwd_len1755_factors_13_3_3_3_5_wgs_117_tpt_117_halfLds_half_op_CI_CI_sbrr_dirReg
	.p2align	8
	.type	fft_rtc_fwd_len1755_factors_13_3_3_3_5_wgs_117_tpt_117_halfLds_half_op_CI_CI_sbrr_dirReg,@function
fft_rtc_fwd_len1755_factors_13_3_3_3_5_wgs_117_tpt_117_halfLds_half_op_CI_CI_sbrr_dirReg: ; @fft_rtc_fwd_len1755_factors_13_3_3_3_5_wgs_117_tpt_117_halfLds_half_op_CI_CI_sbrr_dirReg
; %bb.0:
	s_load_dwordx4 s[16:19], s[4:5], 0x18
	s_load_dwordx4 s[12:15], s[4:5], 0x0
	;; [unrolled: 1-line block ×3, first 2 shown]
	v_mul_u32_u24_e32 v1, 0x231, v0
	v_mov_b32_e32 v7, 0
	s_waitcnt lgkmcnt(0)
	s_load_dwordx2 s[20:21], s[16:17], 0x0
	s_load_dwordx2 s[2:3], s[18:19], 0x0
	v_cmp_lt_u64_e64 s[0:1], s[14:15], 2
	v_mov_b32_e32 v5, 0
	v_add_u32_sdwa v9, s6, v1 dst_sel:DWORD dst_unused:UNUSED_PAD src0_sel:DWORD src1_sel:WORD_1
	v_mov_b32_e32 v10, v7
	s_and_b64 vcc, exec, s[0:1]
	v_mov_b32_e32 v6, 0
	s_cbranch_vccnz .LBB0_8
; %bb.1:
	s_load_dwordx2 s[0:1], s[4:5], 0x10
	s_add_u32 s6, s18, 8
	s_addc_u32 s7, s19, 0
	s_add_u32 s22, s16, 8
	s_addc_u32 s23, s17, 0
	v_mov_b32_e32 v5, 0
	s_waitcnt lgkmcnt(0)
	s_add_u32 s24, s0, 8
	v_mov_b32_e32 v6, 0
	v_mov_b32_e32 v1, v5
	s_addc_u32 s25, s1, 0
	s_mov_b64 s[26:27], 1
	v_mov_b32_e32 v2, v6
.LBB0_2:                                ; =>This Inner Loop Header: Depth=1
	s_load_dwordx2 s[28:29], s[24:25], 0x0
                                        ; implicit-def: $vgpr3_vgpr4
	s_waitcnt lgkmcnt(0)
	v_or_b32_e32 v8, s29, v10
	v_cmp_ne_u64_e32 vcc, 0, v[7:8]
	s_and_saveexec_b64 s[0:1], vcc
	s_xor_b64 s[30:31], exec, s[0:1]
	s_cbranch_execz .LBB0_4
; %bb.3:                                ;   in Loop: Header=BB0_2 Depth=1
	v_cvt_f32_u32_e32 v3, s28
	v_cvt_f32_u32_e32 v4, s29
	s_sub_u32 s0, 0, s28
	s_subb_u32 s1, 0, s29
	v_mac_f32_e32 v3, 0x4f800000, v4
	v_rcp_f32_e32 v3, v3
	v_mul_f32_e32 v3, 0x5f7ffffc, v3
	v_mul_f32_e32 v4, 0x2f800000, v3
	v_trunc_f32_e32 v4, v4
	v_mac_f32_e32 v3, 0xcf800000, v4
	v_cvt_u32_f32_e32 v4, v4
	v_cvt_u32_f32_e32 v3, v3
	v_mul_lo_u32 v8, s0, v4
	v_mul_hi_u32 v11, s0, v3
	v_mul_lo_u32 v13, s1, v3
	v_mul_lo_u32 v12, s0, v3
	v_add_u32_e32 v8, v11, v8
	v_add_u32_e32 v8, v8, v13
	v_mul_hi_u32 v11, v3, v12
	v_mul_lo_u32 v13, v3, v8
	v_mul_hi_u32 v15, v3, v8
	v_mul_hi_u32 v14, v4, v12
	v_mul_lo_u32 v12, v4, v12
	v_mul_hi_u32 v16, v4, v8
	v_add_co_u32_e32 v11, vcc, v11, v13
	v_addc_co_u32_e32 v13, vcc, 0, v15, vcc
	v_mul_lo_u32 v8, v4, v8
	v_add_co_u32_e32 v11, vcc, v11, v12
	v_addc_co_u32_e32 v11, vcc, v13, v14, vcc
	v_addc_co_u32_e32 v12, vcc, 0, v16, vcc
	v_add_co_u32_e32 v8, vcc, v11, v8
	v_addc_co_u32_e32 v11, vcc, 0, v12, vcc
	v_add_co_u32_e32 v3, vcc, v3, v8
	v_addc_co_u32_e32 v4, vcc, v4, v11, vcc
	v_mul_lo_u32 v8, s0, v4
	v_mul_hi_u32 v11, s0, v3
	v_mul_lo_u32 v12, s1, v3
	v_mul_lo_u32 v13, s0, v3
	v_add_u32_e32 v8, v11, v8
	v_add_u32_e32 v8, v8, v12
	v_mul_lo_u32 v14, v3, v8
	v_mul_hi_u32 v15, v3, v13
	v_mul_hi_u32 v16, v3, v8
	;; [unrolled: 1-line block ×3, first 2 shown]
	v_mul_lo_u32 v13, v4, v13
	v_mul_hi_u32 v11, v4, v8
	v_add_co_u32_e32 v14, vcc, v15, v14
	v_addc_co_u32_e32 v15, vcc, 0, v16, vcc
	v_mul_lo_u32 v8, v4, v8
	v_add_co_u32_e32 v13, vcc, v14, v13
	v_addc_co_u32_e32 v12, vcc, v15, v12, vcc
	v_addc_co_u32_e32 v11, vcc, 0, v11, vcc
	v_add_co_u32_e32 v8, vcc, v12, v8
	v_addc_co_u32_e32 v11, vcc, 0, v11, vcc
	v_add_co_u32_e32 v8, vcc, v3, v8
	v_addc_co_u32_e32 v11, vcc, v4, v11, vcc
	v_mad_u64_u32 v[3:4], s[0:1], v9, v11, 0
	v_mul_hi_u32 v12, v9, v8
	v_add_co_u32_e32 v13, vcc, v12, v3
	v_addc_co_u32_e32 v14, vcc, 0, v4, vcc
	v_mad_u64_u32 v[3:4], s[0:1], v10, v8, 0
	v_mad_u64_u32 v[11:12], s[0:1], v10, v11, 0
	v_add_co_u32_e32 v3, vcc, v13, v3
	v_addc_co_u32_e32 v3, vcc, v14, v4, vcc
	v_addc_co_u32_e32 v4, vcc, 0, v12, vcc
	v_add_co_u32_e32 v8, vcc, v3, v11
	v_addc_co_u32_e32 v11, vcc, 0, v4, vcc
	v_mul_lo_u32 v12, s29, v8
	v_mul_lo_u32 v13, s28, v11
	v_mad_u64_u32 v[3:4], s[0:1], s28, v8, 0
	v_add3_u32 v4, v4, v13, v12
	v_sub_u32_e32 v12, v10, v4
	v_mov_b32_e32 v13, s29
	v_sub_co_u32_e32 v3, vcc, v9, v3
	v_subb_co_u32_e64 v12, s[0:1], v12, v13, vcc
	v_subrev_co_u32_e64 v13, s[0:1], s28, v3
	v_subbrev_co_u32_e64 v12, s[0:1], 0, v12, s[0:1]
	v_cmp_le_u32_e64 s[0:1], s29, v12
	v_cndmask_b32_e64 v14, 0, -1, s[0:1]
	v_cmp_le_u32_e64 s[0:1], s28, v13
	v_cndmask_b32_e64 v13, 0, -1, s[0:1]
	v_cmp_eq_u32_e64 s[0:1], s29, v12
	v_cndmask_b32_e64 v12, v14, v13, s[0:1]
	v_add_co_u32_e64 v13, s[0:1], 2, v8
	v_addc_co_u32_e64 v14, s[0:1], 0, v11, s[0:1]
	v_add_co_u32_e64 v15, s[0:1], 1, v8
	v_addc_co_u32_e64 v16, s[0:1], 0, v11, s[0:1]
	v_subb_co_u32_e32 v4, vcc, v10, v4, vcc
	v_cmp_ne_u32_e64 s[0:1], 0, v12
	v_cmp_le_u32_e32 vcc, s29, v4
	v_cndmask_b32_e64 v12, v16, v14, s[0:1]
	v_cndmask_b32_e64 v14, 0, -1, vcc
	v_cmp_le_u32_e32 vcc, s28, v3
	v_cndmask_b32_e64 v3, 0, -1, vcc
	v_cmp_eq_u32_e32 vcc, s29, v4
	v_cndmask_b32_e32 v3, v14, v3, vcc
	v_cmp_ne_u32_e32 vcc, 0, v3
	v_cndmask_b32_e64 v3, v15, v13, s[0:1]
	v_cndmask_b32_e32 v4, v11, v12, vcc
	v_cndmask_b32_e32 v3, v8, v3, vcc
.LBB0_4:                                ;   in Loop: Header=BB0_2 Depth=1
	s_andn2_saveexec_b64 s[0:1], s[30:31]
	s_cbranch_execz .LBB0_6
; %bb.5:                                ;   in Loop: Header=BB0_2 Depth=1
	v_cvt_f32_u32_e32 v3, s28
	s_sub_i32 s30, 0, s28
	v_rcp_iflag_f32_e32 v3, v3
	v_mul_f32_e32 v3, 0x4f7ffffe, v3
	v_cvt_u32_f32_e32 v3, v3
	v_mul_lo_u32 v4, s30, v3
	v_mul_hi_u32 v4, v3, v4
	v_add_u32_e32 v3, v3, v4
	v_mul_hi_u32 v3, v9, v3
	v_mul_lo_u32 v4, v3, s28
	v_add_u32_e32 v8, 1, v3
	v_sub_u32_e32 v4, v9, v4
	v_subrev_u32_e32 v11, s28, v4
	v_cmp_le_u32_e32 vcc, s28, v4
	v_cndmask_b32_e32 v4, v4, v11, vcc
	v_cndmask_b32_e32 v3, v3, v8, vcc
	v_add_u32_e32 v8, 1, v3
	v_cmp_le_u32_e32 vcc, s28, v4
	v_cndmask_b32_e32 v3, v3, v8, vcc
	v_mov_b32_e32 v4, v7
.LBB0_6:                                ;   in Loop: Header=BB0_2 Depth=1
	s_or_b64 exec, exec, s[0:1]
	v_mul_lo_u32 v8, v4, s28
	v_mul_lo_u32 v13, v3, s29
	v_mad_u64_u32 v[11:12], s[0:1], v3, s28, 0
	s_load_dwordx2 s[0:1], s[22:23], 0x0
	s_load_dwordx2 s[28:29], s[6:7], 0x0
	v_add3_u32 v8, v12, v13, v8
	v_sub_co_u32_e32 v9, vcc, v9, v11
	v_subb_co_u32_e32 v8, vcc, v10, v8, vcc
	s_waitcnt lgkmcnt(0)
	v_mul_lo_u32 v10, s0, v8
	v_mul_lo_u32 v11, s1, v9
	v_mad_u64_u32 v[5:6], s[0:1], s0, v9, v[5:6]
	v_mul_lo_u32 v8, s28, v8
	v_mul_lo_u32 v12, s29, v9
	v_mad_u64_u32 v[1:2], s[0:1], s28, v9, v[1:2]
	s_add_u32 s26, s26, 1
	s_addc_u32 s27, s27, 0
	s_add_u32 s6, s6, 8
	v_add3_u32 v2, v12, v2, v8
	s_addc_u32 s7, s7, 0
	v_mov_b32_e32 v8, s14
	s_add_u32 s22, s22, 8
	v_mov_b32_e32 v9, s15
	s_addc_u32 s23, s23, 0
	v_cmp_ge_u64_e32 vcc, s[26:27], v[8:9]
	s_add_u32 s24, s24, 8
	v_add3_u32 v6, v11, v6, v10
	s_addc_u32 s25, s25, 0
	s_cbranch_vccnz .LBB0_9
; %bb.7:                                ;   in Loop: Header=BB0_2 Depth=1
	v_mov_b32_e32 v10, v4
	v_mov_b32_e32 v9, v3
	s_branch .LBB0_2
.LBB0_8:
	v_mov_b32_e32 v1, v5
	v_mov_b32_e32 v3, v9
	;; [unrolled: 1-line block ×4, first 2 shown]
.LBB0_9:
	s_load_dwordx2 s[0:1], s[4:5], 0x28
	s_lshl_b64 s[14:15], s[14:15], 3
	s_add_u32 s4, s18, s14
	s_addc_u32 s5, s19, s15
                                        ; implicit-def: $sgpr18
                                        ; implicit-def: $vgpr7
	s_waitcnt lgkmcnt(0)
	v_cmp_gt_u64_e32 vcc, s[0:1], v[3:4]
	v_cmp_le_u64_e64 s[0:1], s[0:1], v[3:4]
	s_and_saveexec_b64 s[6:7], s[0:1]
	s_xor_b64 s[0:1], exec, s[6:7]
; %bb.10:
	s_mov_b32 s6, 0x2302303
	v_mul_hi_u32 v5, v0, s6
	s_mov_b32 s18, 0
	v_mul_u32_u24_e32 v5, 0x75, v5
	v_sub_u32_e32 v7, v0, v5
                                        ; implicit-def: $vgpr0
                                        ; implicit-def: $vgpr5_vgpr6
; %bb.11:
	s_or_saveexec_b64 s[6:7], s[0:1]
	s_load_dwordx2 s[4:5], s[4:5], 0x0
	v_mov_b32_e32 v15, s18
	v_mov_b32_e32 v46, s18
                                        ; implicit-def: $vgpr47
                                        ; implicit-def: $vgpr21
                                        ; implicit-def: $vgpr48
                                        ; implicit-def: $vgpr8
                                        ; implicit-def: $vgpr49
                                        ; implicit-def: $vgpr9
                                        ; implicit-def: $vgpr50
                                        ; implicit-def: $vgpr10
                                        ; implicit-def: $vgpr51
                                        ; implicit-def: $vgpr11
                                        ; implicit-def: $vgpr52
                                        ; implicit-def: $vgpr12
                                        ; implicit-def: $vgpr53
                                        ; implicit-def: $vgpr13
                                        ; implicit-def: $vgpr41
                                        ; implicit-def: $vgpr28
                                        ; implicit-def: $vgpr39
                                        ; implicit-def: $vgpr27
                                        ; implicit-def: $vgpr38
                                        ; implicit-def: $vgpr26
                                        ; implicit-def: $vgpr37
                                        ; implicit-def: $vgpr25
                                        ; implicit-def: $vgpr35
                                        ; implicit-def: $vgpr23
                                        ; implicit-def: $vgpr34
                                        ; implicit-def: $vgpr22
                                        ; implicit-def: $vgpr45
                                        ; implicit-def: $vgpr33
                                        ; implicit-def: $vgpr44
                                        ; implicit-def: $vgpr32
                                        ; implicit-def: $vgpr43
                                        ; implicit-def: $vgpr31
                                        ; implicit-def: $vgpr42
                                        ; implicit-def: $vgpr30
                                        ; implicit-def: $vgpr40
                                        ; implicit-def: $vgpr29
                                        ; implicit-def: $vgpr36
                                        ; implicit-def: $vgpr24
                                        ; implicit-def: $vgpr59
                                        ; implicit-def: $vgpr20
                                        ; implicit-def: $vgpr58
                                        ; implicit-def: $vgpr19
                                        ; implicit-def: $vgpr57
                                        ; implicit-def: $vgpr18
                                        ; implicit-def: $vgpr56
                                        ; implicit-def: $vgpr17
                                        ; implicit-def: $vgpr55
                                        ; implicit-def: $vgpr16
                                        ; implicit-def: $vgpr54
                                        ; implicit-def: $vgpr14
	s_xor_b64 exec, exec, s[6:7]
	s_cbranch_execz .LBB0_15
; %bb.12:
	s_add_u32 s0, s16, s14
	s_mov_b32 s14, 0x2302303
	v_mul_hi_u32 v7, v0, s14
	s_addc_u32 s1, s17, s15
	s_load_dwordx2 s[0:1], s[0:1], 0x0
	v_lshlrev_b64 v[5:6], 2, v[5:6]
	v_mul_u32_u24_e32 v7, 0x75, v7
	v_sub_u32_e32 v7, v0, v7
	v_mad_u64_u32 v[8:9], s[14:15], s20, v7, 0
	s_waitcnt lgkmcnt(0)
	v_mul_lo_u32 v14, s1, v3
	v_mul_lo_u32 v15, s0, v4
	v_mad_u64_u32 v[10:11], s[0:1], s0, v3, 0
	v_mov_b32_e32 v0, v9
	v_mad_u64_u32 v[12:13], s[0:1], s21, v7, v[0:1]
	v_add3_u32 v11, v11, v15, v14
	v_lshlrev_b64 v[10:11], 2, v[10:11]
	v_mov_b32_e32 v9, v12
	v_mov_b32_e32 v0, s9
	v_add_co_u32_e64 v12, s[0:1], s8, v10
	v_add_u32_e32 v14, 0x87, v7
	v_addc_co_u32_e64 v13, s[0:1], v0, v11, s[0:1]
	v_mad_u64_u32 v[10:11], s[0:1], s20, v14, 0
	v_add_co_u32_e64 v0, s[0:1], v12, v5
	v_addc_co_u32_e64 v5, s[0:1], v13, v6, s[0:1]
	v_mov_b32_e32 v6, v11
	v_mad_u64_u32 v[11:12], s[0:1], s21, v14, v[6:7]
	v_add_u32_e32 v14, 0x10e, v7
	v_mad_u64_u32 v[12:13], s[0:1], s20, v14, 0
	v_lshlrev_b64 v[8:9], 2, v[8:9]
	v_add_u32_e32 v21, 0x32a, v7
	v_add_co_u32_e64 v15, s[0:1], v0, v8
	v_mov_b32_e32 v6, v13
	v_addc_co_u32_e64 v16, s[0:1], v5, v9, s[0:1]
	v_lshlrev_b64 v[8:9], 2, v[10:11]
	v_mad_u64_u32 v[10:11], s[0:1], s21, v14, v[6:7]
	v_add_u32_e32 v11, 0x195, v7
	v_mad_u64_u32 v[17:18], s[0:1], s20, v11, 0
	v_add_co_u32_e64 v19, s[0:1], v0, v8
	v_mov_b32_e32 v13, v10
	v_mov_b32_e32 v6, v18
	v_addc_co_u32_e64 v20, s[0:1], v5, v9, s[0:1]
	v_lshlrev_b64 v[8:9], 2, v[12:13]
	v_mad_u64_u32 v[10:11], s[0:1], s21, v11, v[6:7]
	v_add_u32_e32 v13, 0x21c, v7
	v_mad_u64_u32 v[11:12], s[0:1], s20, v13, 0
	v_add_co_u32_e64 v22, s[0:1], v0, v8
	v_mov_b32_e32 v6, v12
	v_addc_co_u32_e64 v23, s[0:1], v5, v9, s[0:1]
	v_mov_b32_e32 v18, v10
	v_mad_u64_u32 v[12:13], s[0:1], s21, v13, v[6:7]
	v_add_u32_e32 v10, 0x2a3, v7
	v_mad_u64_u32 v[13:14], s[0:1], s20, v10, 0
	v_lshlrev_b64 v[8:9], 2, v[17:18]
	v_add_u32_e32 v37, 0x4bf, v7
	v_add_co_u32_e64 v17, s[0:1], v0, v8
	v_mov_b32_e32 v6, v14
	v_addc_co_u32_e64 v18, s[0:1], v5, v9, s[0:1]
	v_lshlrev_b64 v[8:9], 2, v[11:12]
	v_mad_u64_u32 v[10:11], s[0:1], s21, v10, v[6:7]
	v_mad_u64_u32 v[11:12], s[0:1], s20, v21, 0
	v_add_co_u32_e64 v24, s[0:1], v0, v8
	v_mov_b32_e32 v14, v10
	v_mov_b32_e32 v6, v12
	v_addc_co_u32_e64 v25, s[0:1], v5, v9, s[0:1]
	v_lshlrev_b64 v[8:9], 2, v[13:14]
	v_mad_u64_u32 v[12:13], s[0:1], s21, v21, v[6:7]
	v_add_u32_e32 v10, 0x3b1, v7
	v_mad_u64_u32 v[13:14], s[0:1], s20, v10, 0
	v_add_co_u32_e64 v26, s[0:1], v0, v8
	v_mov_b32_e32 v6, v14
	v_addc_co_u32_e64 v27, s[0:1], v5, v9, s[0:1]
	v_lshlrev_b64 v[8:9], 2, v[11:12]
	v_mad_u64_u32 v[10:11], s[0:1], s21, v10, v[6:7]
	v_add_co_u32_e64 v28, s[0:1], v0, v8
	v_mov_b32_e32 v14, v10
	v_add_u32_e32 v10, 0x438, v7
	v_addc_co_u32_e64 v29, s[0:1], v5, v9, s[0:1]
	v_mad_u64_u32 v[30:31], s[0:1], s20, v10, 0
	v_lshlrev_b64 v[8:9], 2, v[13:14]
	v_mov_b32_e32 v46, 0
	v_add_co_u32_e64 v32, s[0:1], v0, v8
	v_mov_b32_e32 v6, v31
	v_addc_co_u32_e64 v33, s[0:1], v5, v9, s[0:1]
	v_mad_u64_u32 v[34:35], s[0:1], s21, v10, v[6:7]
	v_mad_u64_u32 v[35:36], s[0:1], s20, v37, 0
	global_load_dword v21, v[15:16], off
	global_load_dword v8, v[19:20], off
	;; [unrolled: 1-line block ×8, first 2 shown]
	v_add_u32_e32 v20, 0x546, v7
	v_mov_b32_e32 v6, v36
	v_mad_u64_u32 v[17:18], s[0:1], s21, v37, v[6:7]
	v_mov_b32_e32 v31, v34
	v_mad_u64_u32 v[18:19], s[0:1], s20, v20, 0
	v_lshlrev_b64 v[15:16], 2, v[30:31]
	v_mov_b32_e32 v36, v17
	v_add_co_u32_e64 v22, s[0:1], v0, v15
	v_add_u32_e32 v17, 0x5cd, v7
	v_addc_co_u32_e64 v23, s[0:1], v5, v16, s[0:1]
	v_mov_b32_e32 v6, v19
	v_mad_u64_u32 v[24:25], s[0:1], s20, v17, 0
	v_mad_u64_u32 v[19:20], s[0:1], s21, v20, v[6:7]
	v_lshlrev_b64 v[15:16], 2, v[35:36]
	v_mov_b32_e32 v6, v25
	v_add_co_u32_e64 v26, s[0:1], v0, v15
	v_addc_co_u32_e64 v27, s[0:1], v5, v16, s[0:1]
	v_lshlrev_b64 v[15:16], 2, v[18:19]
	v_mad_u64_u32 v[17:18], s[0:1], s21, v17, v[6:7]
	v_add_u32_e32 v20, 0x654, v7
	v_mad_u64_u32 v[18:19], s[0:1], s20, v20, 0
	v_add_co_u32_e64 v28, s[0:1], v0, v15
	v_mov_b32_e32 v6, v19
	v_addc_co_u32_e64 v29, s[0:1], v5, v16, s[0:1]
	v_mov_b32_e32 v25, v17
	v_mad_u64_u32 v[19:20], s[0:1], s21, v20, v[6:7]
	v_lshlrev_b64 v[15:16], 2, v[24:25]
                                        ; implicit-def: $vgpr36
                                        ; implicit-def: $vgpr40
                                        ; implicit-def: $vgpr42
                                        ; implicit-def: $vgpr43
                                        ; implicit-def: $vgpr32
                                        ; implicit-def: $vgpr44
                                        ; implicit-def: $vgpr33
                                        ; implicit-def: $vgpr45
                                        ; implicit-def: $vgpr34
                                        ; implicit-def: $vgpr35
                                        ; implicit-def: $vgpr37
                                        ; implicit-def: $vgpr38
                                        ; implicit-def: $vgpr39
                                        ; implicit-def: $vgpr41
	v_add_co_u32_e64 v24, s[0:1], v0, v15
	v_addc_co_u32_e64 v25, s[0:1], v5, v16, s[0:1]
	v_lshlrev_b64 v[15:16], 2, v[18:19]
	v_add_co_u32_e64 v30, s[0:1], v0, v15
	v_addc_co_u32_e64 v31, s[0:1], v5, v16, s[0:1]
	global_load_dword v16, v[22:23], off
	global_load_dword v17, v[26:27], off
	;; [unrolled: 1-line block ×5, first 2 shown]
	v_cmp_gt_u32_e64 s[0:1], 18, v7
	v_mov_b32_e32 v15, 0
                                        ; implicit-def: $vgpr24
                                        ; implicit-def: $vgpr29
                                        ; implicit-def: $vgpr30
                                        ; implicit-def: $vgpr31
                                        ; implicit-def: $vgpr22
                                        ; implicit-def: $vgpr23
                                        ; implicit-def: $vgpr25
                                        ; implicit-def: $vgpr26
                                        ; implicit-def: $vgpr27
                                        ; implicit-def: $vgpr28
	s_and_saveexec_b64 s[8:9], s[0:1]
	s_cbranch_execz .LBB0_14
; %bb.13:
	v_add_u32_e32 v15, 0x75, v7
	v_mad_u64_u32 v[22:23], s[0:1], s20, v15, 0
	v_add_u32_e32 v28, 0xfc, v7
	v_mad_u64_u32 v[24:25], s[0:1], s20, v28, 0
	v_mov_b32_e32 v6, v23
	v_mad_u64_u32 v[26:27], s[0:1], s21, v15, v[6:7]
	v_mov_b32_e32 v6, v25
	v_add_u32_e32 v15, 0x183, v7
	v_mov_b32_e32 v23, v26
	v_mad_u64_u32 v[25:26], s[0:1], s21, v28, v[6:7]
	v_mad_u64_u32 v[26:27], s[0:1], s20, v15, 0
	v_lshlrev_b64 v[22:23], 2, v[22:23]
	v_add_co_u32_e64 v29, s[0:1], v0, v22
	v_mov_b32_e32 v6, v27
	v_addc_co_u32_e64 v30, s[0:1], v5, v23, s[0:1]
	v_lshlrev_b64 v[22:23], 2, v[24:25]
	v_mad_u64_u32 v[24:25], s[0:1], s21, v15, v[6:7]
	v_add_u32_e32 v15, 0x20a, v7
	v_mad_u64_u32 v[31:32], s[0:1], s20, v15, 0
	v_add_co_u32_e64 v33, s[0:1], v0, v22
	v_mov_b32_e32 v6, v32
	v_addc_co_u32_e64 v34, s[0:1], v5, v23, s[0:1]
	v_mov_b32_e32 v27, v24
	v_mad_u64_u32 v[24:25], s[0:1], s21, v15, v[6:7]
	v_add_u32_e32 v15, 0x291, v7
	v_lshlrev_b64 v[22:23], 2, v[26:27]
	v_mad_u64_u32 v[25:26], s[0:1], s20, v15, 0
	v_add_co_u32_e64 v35, s[0:1], v0, v22
	v_mov_b32_e32 v6, v26
	v_addc_co_u32_e64 v36, s[0:1], v5, v23, s[0:1]
	v_mad_u64_u32 v[26:27], s[0:1], s21, v15, v[6:7]
	v_add_u32_e32 v15, 0x318, v7
	v_mad_u64_u32 v[27:28], s[0:1], s20, v15, 0
	v_mov_b32_e32 v32, v24
	v_lshlrev_b64 v[22:23], 2, v[31:32]
	v_mov_b32_e32 v6, v28
	v_add_co_u32_e64 v31, s[0:1], v0, v22
	v_addc_co_u32_e64 v32, s[0:1], v5, v23, s[0:1]
	v_lshlrev_b64 v[22:23], 2, v[25:26]
	v_mad_u64_u32 v[24:25], s[0:1], s21, v15, v[6:7]
	v_add_u32_e32 v15, 0x39f, v7
	v_mad_u64_u32 v[25:26], s[0:1], s20, v15, 0
	v_add_co_u32_e64 v37, s[0:1], v0, v22
	v_mov_b32_e32 v28, v24
	v_mov_b32_e32 v6, v26
	v_addc_co_u32_e64 v38, s[0:1], v5, v23, s[0:1]
	v_lshlrev_b64 v[22:23], 2, v[27:28]
	v_mad_u64_u32 v[26:27], s[0:1], s21, v15, v[6:7]
	v_add_u32_e32 v15, 0x426, v7
	v_mad_u64_u32 v[27:28], s[0:1], s20, v15, 0
	v_add_co_u32_e64 v39, s[0:1], v0, v22
	v_mov_b32_e32 v6, v28
	v_addc_co_u32_e64 v40, s[0:1], v5, v23, s[0:1]
	v_lshlrev_b64 v[22:23], 2, v[25:26]
	v_mad_u64_u32 v[24:25], s[0:1], s21, v15, v[6:7]
	v_add_co_u32_e64 v41, s[0:1], v0, v22
	v_add_u32_e32 v15, 0x4ad, v7
	v_addc_co_u32_e64 v42, s[0:1], v5, v23, s[0:1]
	v_mad_u64_u32 v[43:44], s[0:1], s20, v15, 0
	v_mov_b32_e32 v28, v24
	v_lshlrev_b64 v[22:23], 2, v[27:28]
	v_mov_b32_e32 v6, v44
	v_add_co_u32_e64 v47, s[0:1], v0, v22
	v_addc_co_u32_e64 v48, s[0:1], v5, v23, s[0:1]
	v_mad_u64_u32 v[44:45], s[0:1], s21, v15, v[6:7]
	v_add_u32_e32 v15, 0x534, v7
	v_mad_u64_u32 v[49:50], s[0:1], s20, v15, 0
	global_load_dword v46, v[29:30], off
	global_load_dword v28, v[33:34], off
	;; [unrolled: 1-line block ×8, first 2 shown]
	v_lshlrev_b64 v[29:30], 2, v[43:44]
	v_mov_b32_e32 v6, v50
	v_mad_u64_u32 v[31:32], s[0:1], s21, v15, v[6:7]
	v_add_u32_e32 v15, 0x5bb, v7
	v_mad_u64_u32 v[32:33], s[0:1], s20, v15, 0
	v_add_co_u32_e64 v34, s[0:1], v0, v29
	v_mov_b32_e32 v6, v33
	v_addc_co_u32_e64 v35, s[0:1], v5, v30, s[0:1]
	v_mad_u64_u32 v[36:37], s[0:1], s21, v15, v[6:7]
	v_add_u32_e32 v15, 0x642, v7
	v_mad_u64_u32 v[37:38], s[0:1], s20, v15, 0
	v_mov_b32_e32 v50, v31
	v_lshlrev_b64 v[29:30], 2, v[49:50]
	v_mov_b32_e32 v33, v36
	v_add_co_u32_e64 v39, s[0:1], v0, v29
	v_mov_b32_e32 v6, v38
	v_addc_co_u32_e64 v40, s[0:1], v5, v30, s[0:1]
	v_lshlrev_b64 v[29:30], 2, v[32:33]
	v_mad_u64_u32 v[31:32], s[0:1], s21, v15, v[6:7]
	v_add_u32_e32 v15, 0x6c9, v7
	v_mad_u64_u32 v[32:33], s[0:1], s20, v15, 0
	v_add_co_u32_e64 v41, s[0:1], v0, v29
	v_mov_b32_e32 v38, v31
	v_mov_b32_e32 v6, v33
	v_addc_co_u32_e64 v42, s[0:1], v5, v30, s[0:1]
	v_lshlrev_b64 v[29:30], 2, v[37:38]
	v_mad_u64_u32 v[36:37], s[0:1], s21, v15, v[6:7]
	v_add_co_u32_e64 v37, s[0:1], v0, v29
	v_mov_b32_e32 v33, v36
	v_addc_co_u32_e64 v38, s[0:1], v5, v30, s[0:1]
	v_lshlrev_b64 v[29:30], 2, v[32:33]
	v_add_co_u32_e64 v43, s[0:1], v0, v29
	v_addc_co_u32_e64 v44, s[0:1], v5, v30, s[0:1]
	global_load_dword v29, v[34:35], off
	global_load_dword v30, v[39:40], off
	;; [unrolled: 1-line block ×5, first 2 shown]
	s_waitcnt vmcnt(12)
	v_lshrrev_b32_e32 v15, 16, v46
	s_waitcnt vmcnt(11)
	v_lshrrev_b32_e32 v41, 16, v28
	;; [unrolled: 2-line block ×13, first 2 shown]
.LBB0_14:
	s_or_b64 exec, exec, s[8:9]
	s_waitcnt vmcnt(12)
	v_lshrrev_b32_e32 v47, 16, v21
	s_waitcnt vmcnt(11)
	v_lshrrev_b32_e32 v48, 16, v8
	;; [unrolled: 2-line block ×13, first 2 shown]
.LBB0_15:
	s_or_b64 exec, exec, s[6:7]
	v_add_f16_e32 v0, v21, v8
	v_add_f16_e32 v0, v0, v9
	;; [unrolled: 1-line block ×13, first 2 shown]
	v_mad_u32_u24 v5, v7, 26, 0
	s_mov_b32 s8, 0x388b3b15
	v_sub_f16_e32 v64, v48, v59
	v_add_f16_e32 v62, v19, v9
	ds_write_b16 v5, v0
	v_pk_mul_f16 v0, v6, s8 op_sel_hi:[0,1]
	s_mov_b32 s30, 0xba95b770
	s_mov_b32 s15, 0xb5ac388b
	v_sub_f16_e32 v65, v49, v58
	v_add_f16_e32 v63, v18, v10
	v_pk_fma_f16 v60, v64, s30, v0 op_sel_hi:[0,1,1] neg_lo:[1,0,0] neg_hi:[1,0,0]
	v_pk_mul_f16 v73, v62, s15 op_sel_hi:[0,1]
	s_mov_b32 s34, 0xbb7bba95
	s_mov_b32 s18, 0xbbc42fb7
	v_sub_f16_e32 v66, v50, v57
	v_add_f16_e32 v67, v17, v11
	v_pk_add_f16 v60, v60, v21 op_sel_hi:[1,0]
	v_pk_fma_f16 v61, v65, s34, v73 op_sel_hi:[0,1,1] neg_lo:[1,0,0] neg_hi:[1,0,0]
	v_pk_mul_f16 v74, v63, s18 op_sel_hi:[0,1]
	s_mov_b32 s37, 0xb3a8bbf1
	s_mov_b32 s21, 0xb9fdb5ac
	v_sub_f16_e32 v68, v51, v56
	v_add_f16_e32 v69, v16, v12
	v_pk_add_f16 v60, v60, v61
	v_pk_fma_f16 v61, v66, s37, v74 op_sel_hi:[0,1,1] neg_lo:[1,0,0] neg_hi:[1,0,0]
	v_pk_mul_f16 v75, v67, s21 op_sel_hi:[0,1]
	s_mov_b32 s40, 0x394ebb7b
	s_mov_b32 s24, 0x2fb7b9fd
	v_sub_f16_e32 v70, v52, v55
	v_add_f16_e32 v71, v14, v13
	v_pk_add_f16 v60, v60, v61
	v_pk_fma_f16 v61, v68, s40, v75 op_sel_hi:[0,1,1] neg_lo:[1,0,0] neg_hi:[1,0,0]
	v_pk_mul_f16 v76, v69, s24 op_sel_hi:[0,1]
	s_mov_b32 s43, 0x3bf1b94e
	s_mov_b32 s27, 0x3b15bbc4
	v_sub_f16_e32 v72, v53, v54
	v_pk_add_f16 v60, v60, v61
	v_pk_fma_f16 v61, v70, s43, v76 op_sel_hi:[0,1,1] neg_lo:[1,0,0] neg_hi:[1,0,0]
	v_pk_mul_f16 v77, v71, s27 op_sel_hi:[0,1]
	s_mov_b32 s46, 0x3770b3a8
	s_mov_b32 s9, 0xb5ac2fb7
	v_pk_add_f16 v60, v60, v61
	v_pk_fma_f16 v61, v72, s46, v77 op_sel_hi:[0,1,1] neg_lo:[1,0,0] neg_hi:[1,0,0]
	v_pk_mul_f16 v78, v6, s9 op_sel_hi:[0,1]
	s_mov_b32 s31, 0xbb7bbbf1
	s_mov_b32 s16, 0xb9fdbbc4
	v_pk_add_f16 v60, v60, v61
	v_pk_fma_f16 v61, v64, s31, v78 op_sel_hi:[0,1,1] neg_lo:[1,0,0] neg_hi:[1,0,0]
	v_pk_mul_f16 v79, v62, s16 op_sel_hi:[0,1]
	s_mov_b32 s35, 0x394eb3a8
	v_pk_add_f16 v61, v61, v21 op_sel_hi:[1,0]
	v_pk_fma_f16 v80, v65, s35, v79 op_sel_hi:[0,1,1] neg_lo:[1,0,0] neg_hi:[1,0,0]
	s_mov_b32 s19, 0x3b15b5ac
	v_pk_add_f16 v61, v61, v80
	v_pk_mul_f16 v80, v63, s19 op_sel_hi:[0,1]
	s_mov_b32 s38, 0x37703b7b
	v_pk_fma_f16 v81, v66, s38, v80 op_sel_hi:[0,1,1] neg_lo:[1,0,0] neg_hi:[1,0,0]
	s_mov_b32 s22, 0x2fb73b15
	v_pk_add_f16 v61, v61, v81
	v_pk_mul_f16 v81, v67, s22 op_sel_hi:[0,1]
	s_mov_b32 s41, 0xbbf13770
	;; [unrolled: 5-line block ×4, first 2 shown]
	s_mov_b32 s14, 0xbbc4b9fd
	v_pk_fma_f16 v84, v72, s47, v83 op_sel_hi:[0,1,1] neg_lo:[1,0,0] neg_hi:[1,0,0]
	v_pk_mul_f16 v6, v6, s14 op_sel_hi:[0,1]
	s_mov_b32 s33, 0xb3a8b94e
	s_mov_b32 s17, 0x3b152fb7
	v_pk_add_f16 v61, v61, v84
	v_pk_fma_f16 v84, v64, s33, v6 op_sel_hi:[0,1,1] neg_lo:[1,0,0] neg_hi:[1,0,0]
	v_pk_mul_f16 v85, v62, s17 op_sel_hi:[0,1]
	s_mov_b32 s36, 0x37703bf1
	s_mov_b32 s20, 0xb9fd388b
	v_pk_add_f16 v84, v84, v21 op_sel_hi:[1,0]
	v_pk_fma_f16 v62, v65, s36, v85 op_sel_hi:[0,1,1] neg_lo:[1,0,0] neg_hi:[1,0,0]
	v_pk_mul_f16 v63, v63, s20 op_sel_hi:[0,1]
	s_mov_b32 s39, 0xb94eba95
	s_mov_b32 s23, 0x388bbbc4
	v_pk_add_f16 v62, v84, v62
	v_pk_fma_f16 v84, v66, s39, v63 op_sel_hi:[0,1,1] neg_lo:[1,0,0] neg_hi:[1,0,0]
	v_pk_mul_f16 v67, v67, s23 op_sel_hi:[0,1]
	s_mov_b32 s42, 0x3a9533a8
	s_mov_b32 s26, 0xb5ac3b15
	v_pk_add_f16 v62, v62, v84
	;; [unrolled: 5-line block ×3, first 2 shown]
	v_pk_fma_f16 v84, v70, s45, v69 op_sel_hi:[0,1,1] neg_lo:[1,0,0] neg_hi:[1,0,0]
	v_pk_mul_f16 v71, v71, s29 op_sel_hi:[0,1]
	s_mov_b32 s48, 0x3bf1bb7b
	v_pk_add_f16 v62, v62, v84
	v_pk_fma_f16 v84, v72, s48, v71 op_sel_hi:[0,1,1] neg_lo:[1,0,0] neg_hi:[1,0,0]
	v_pk_fma_f16 v6, v64, s33, v6 op_sel_hi:[0,1,1]
	v_pk_add_f16 v62, v62, v84
	v_pk_add_f16 v6, v6, v21 op_sel_hi:[1,0]
	v_pk_fma_f16 v84, v65, s36, v85 op_sel_hi:[0,1,1]
	v_pk_add_f16 v6, v6, v84
	v_pk_fma_f16 v63, v66, s39, v63 op_sel_hi:[0,1,1]
	v_pk_add_f16 v6, v6, v63
	;; [unrolled: 2-line block ×5, first 2 shown]
	v_alignbit_b32 v63, v6, v6, 16
	v_pk_fma_f16 v6, v64, s31, v78 op_sel_hi:[0,1,1]
	ds_write_b128 v5, v[60:63] offset:2
	v_pk_add_f16 v6, v6, v21 op_sel_hi:[1,0]
	v_pk_fma_f16 v60, v65, s35, v79 op_sel_hi:[0,1,1]
	v_pk_add_f16 v6, v6, v60
	v_pk_fma_f16 v60, v66, s38, v80 op_sel_hi:[0,1,1]
	v_pk_add_f16 v6, v6, v60
	;; [unrolled: 2-line block ×5, first 2 shown]
	v_pk_fma_f16 v0, v64, s30, v0 op_sel_hi:[0,1,1]
	v_alignbit_b32 v60, v6, v6, 16
	v_pk_add_f16 v0, v0, v21 op_sel_hi:[1,0]
	v_pk_fma_f16 v6, v65, s34, v73 op_sel_hi:[0,1,1]
	v_pk_add_f16 v0, v0, v6
	v_pk_fma_f16 v6, v66, s37, v74 op_sel_hi:[0,1,1]
	v_pk_add_f16 v0, v0, v6
	;; [unrolled: 2-line block ×5, first 2 shown]
	v_alignbit_b32 v61, v0, v0, 16
	v_cmp_gt_u32_e64 s[0:1], 18, v7
	ds_write_b64 v5, v[60:61] offset:18
	s_and_saveexec_b64 s[6:7], s[0:1]
	s_cbranch_execz .LBB0_17
; %bb.16:
	v_add_f16_e32 v0, v46, v28
	v_add_f16_e32 v0, v0, v27
	;; [unrolled: 1-line block ×13, first 2 shown]
	v_sub_f16_e32 v21, v41, v45
	v_add_f16_e32 v62, v27, v32
	ds_write_b16 v5, v0 offset:3042
	v_pk_mul_f16 v0, v6, s8 op_sel_hi:[0,1]
	v_sub_f16_e32 v64, v39, v44
	v_add_f16_e32 v63, v26, v31
	v_pk_mul_f16 v72, v62, s15 op_sel_hi:[0,1]
	v_pk_fma_f16 v60, v21, s30, v0 op_sel_hi:[0,1,1] neg_lo:[1,0,0] neg_hi:[1,0,0]
	v_sub_f16_e32 v65, v38, v43
	v_add_f16_e32 v66, v25, v30
	v_pk_mul_f16 v73, v63, s18 op_sel_hi:[0,1]
	v_pk_add_f16 v60, v46, v60 op_sel_hi:[0,1]
	v_pk_fma_f16 v61, v64, s34, v72 op_sel_hi:[0,1,1] neg_lo:[1,0,0] neg_hi:[1,0,0]
	v_sub_f16_e32 v67, v37, v42
	v_add_f16_e32 v68, v23, v29
	v_pk_mul_f16 v74, v66, s21 op_sel_hi:[0,1]
	v_pk_add_f16 v60, v60, v61
	v_pk_fma_f16 v61, v65, s37, v73 op_sel_hi:[0,1,1] neg_lo:[1,0,0] neg_hi:[1,0,0]
	v_sub_f16_e32 v69, v35, v40
	v_add_f16_e32 v70, v22, v24
	v_pk_mul_f16 v75, v68, s24 op_sel_hi:[0,1]
	v_pk_add_f16 v60, v60, v61
	v_pk_fma_f16 v61, v67, s40, v74 op_sel_hi:[0,1,1] neg_lo:[1,0,0] neg_hi:[1,0,0]
	v_sub_f16_e32 v71, v34, v36
	v_pk_mul_f16 v76, v70, s27 op_sel_hi:[0,1]
	v_pk_add_f16 v60, v60, v61
	v_pk_fma_f16 v61, v69, s43, v75 op_sel_hi:[0,1,1] neg_lo:[1,0,0] neg_hi:[1,0,0]
	v_pk_add_f16 v60, v60, v61
	v_pk_fma_f16 v61, v71, s46, v76 op_sel_hi:[0,1,1] neg_lo:[1,0,0] neg_hi:[1,0,0]
	v_pk_mul_f16 v77, v6, s9 op_sel_hi:[0,1]
	v_pk_add_f16 v60, v60, v61
	v_pk_mul_f16 v78, v62, s16 op_sel_hi:[0,1]
	v_pk_fma_f16 v61, v21, s31, v77 op_sel_hi:[0,1,1] neg_lo:[1,0,0] neg_hi:[1,0,0]
	v_pk_mul_f16 v79, v63, s19 op_sel_hi:[0,1]
	v_pk_add_f16 v61, v46, v61 op_sel_hi:[0,1]
	v_pk_fma_f16 v83, v64, s35, v78 op_sel_hi:[0,1,1] neg_lo:[1,0,0] neg_hi:[1,0,0]
	v_pk_mul_f16 v80, v66, s22 op_sel_hi:[0,1]
	v_pk_add_f16 v61, v61, v83
	v_pk_fma_f16 v83, v65, s38, v79 op_sel_hi:[0,1,1] neg_lo:[1,0,0] neg_hi:[1,0,0]
	v_pk_mul_f16 v81, v68, s25 op_sel_hi:[0,1]
	v_pk_add_f16 v61, v61, v83
	;; [unrolled: 3-line block ×3, first 2 shown]
	v_pk_fma_f16 v83, v69, s44, v81 op_sel_hi:[0,1,1] neg_lo:[1,0,0] neg_hi:[1,0,0]
	v_pk_add_f16 v61, v61, v83
	v_pk_fma_f16 v83, v71, s47, v82 op_sel_hi:[0,1,1] neg_lo:[1,0,0] neg_hi:[1,0,0]
	v_pk_mul_f16 v6, v6, s14 op_sel_hi:[0,1]
	v_pk_add_f16 v61, v61, v83
	v_pk_mul_f16 v83, v62, s17 op_sel_hi:[0,1]
	v_pk_fma_f16 v62, v21, s33, v6 op_sel_hi:[0,1,1] neg_lo:[1,0,0] neg_hi:[1,0,0]
	v_pk_fma_f16 v6, v21, s33, v6 op_sel_hi:[0,1,1]
	v_pk_mul_f16 v63, v63, s20 op_sel_hi:[0,1]
	v_pk_add_f16 v62, v46, v62 op_sel_hi:[0,1]
	v_pk_fma_f16 v84, v64, s36, v83 op_sel_hi:[0,1,1] neg_lo:[1,0,0] neg_hi:[1,0,0]
	v_pk_add_f16 v6, v46, v6 op_sel_hi:[0,1]
	v_pk_fma_f16 v83, v64, s36, v83 op_sel_hi:[0,1,1]
	v_pk_mul_f16 v66, v66, s23 op_sel_hi:[0,1]
	v_pk_add_f16 v62, v62, v84
	v_pk_fma_f16 v84, v65, s39, v63 op_sel_hi:[0,1,1] neg_lo:[1,0,0] neg_hi:[1,0,0]
	v_pk_add_f16 v6, v6, v83
	v_pk_fma_f16 v63, v65, s39, v63 op_sel_hi:[0,1,1]
	v_pk_mul_f16 v68, v68, s26 op_sel_hi:[0,1]
	v_pk_add_f16 v6, v6, v63
	v_pk_fma_f16 v63, v67, s42, v66 op_sel_hi:[0,1,1]
	v_pk_mul_f16 v70, v70, s29 op_sel_hi:[0,1]
	v_pk_add_f16 v62, v62, v84
	v_pk_fma_f16 v84, v67, s42, v66 op_sel_hi:[0,1,1] neg_lo:[1,0,0] neg_hi:[1,0,0]
	v_pk_add_f16 v6, v6, v63
	v_pk_fma_f16 v63, v69, s45, v68 op_sel_hi:[0,1,1]
	v_pk_add_f16 v62, v62, v84
	v_pk_fma_f16 v84, v69, s45, v68 op_sel_hi:[0,1,1] neg_lo:[1,0,0] neg_hi:[1,0,0]
	v_pk_add_f16 v6, v6, v63
	v_pk_fma_f16 v63, v71, s48, v70 op_sel_hi:[0,1,1]
	v_pk_add_f16 v62, v62, v84
	v_pk_fma_f16 v84, v71, s48, v70 op_sel_hi:[0,1,1] neg_lo:[1,0,0] neg_hi:[1,0,0]
	v_pk_add_f16 v6, v6, v63
	v_pk_add_f16 v62, v62, v84
	v_alignbit_b32 v63, v6, v6, 16
	v_pk_fma_f16 v6, v21, s31, v77 op_sel_hi:[0,1,1]
	ds_write_b128 v5, v[60:63] offset:3044
	v_pk_add_f16 v6, v46, v6 op_sel_hi:[0,1]
	v_pk_fma_f16 v60, v64, s35, v78 op_sel_hi:[0,1,1]
	v_pk_add_f16 v6, v6, v60
	v_pk_fma_f16 v60, v65, s38, v79 op_sel_hi:[0,1,1]
	v_pk_add_f16 v6, v6, v60
	v_pk_fma_f16 v60, v67, s41, v80 op_sel_hi:[0,1,1]
	v_pk_add_f16 v6, v6, v60
	v_pk_fma_f16 v60, v69, s44, v81 op_sel_hi:[0,1,1]
	v_pk_add_f16 v6, v6, v60
	v_pk_fma_f16 v60, v71, s47, v82 op_sel_hi:[0,1,1]
	v_pk_add_f16 v6, v6, v60
	v_pk_fma_f16 v0, v21, s30, v0 op_sel_hi:[0,1,1]
	v_alignbit_b32 v60, v6, v6, 16
	v_pk_add_f16 v0, v46, v0 op_sel_hi:[0,1]
	v_pk_fma_f16 v6, v64, s34, v72 op_sel_hi:[0,1,1]
	v_pk_add_f16 v0, v0, v6
	v_pk_fma_f16 v6, v65, s37, v73 op_sel_hi:[0,1,1]
	v_pk_add_f16 v0, v0, v6
	;; [unrolled: 2-line block ×5, first 2 shown]
	v_alignbit_b32 v61, v0, v0, 16
	ds_write_b64 v5, v[60:61] offset:3060
.LBB0_17:
	s_or_b64 exec, exec, s[6:7]
	v_add_f16_e32 v0, v47, v48
	v_add_f16_e32 v0, v0, v49
	;; [unrolled: 1-line block ×11, first 2 shown]
	v_sub_f16_e32 v6, v8, v20
	v_add_f16_e32 v60, v59, v0
	v_add_f16_e32 v0, v59, v48
	v_sub_f16_e32 v19, v9, v19
	v_pk_mul_f16 v9, v6, s30 op_sel_hi:[0,1]
	v_add_f16_e32 v20, v58, v49
	v_sub_f16_e32 v13, v13, v14
	v_pk_fma_f16 v8, v0, s8, v9 op_sel_hi:[0,1,1]
	v_pk_mul_f16 v14, v19, s34 op_sel_hi:[0,1]
	v_sub_f16_e32 v10, v10, v18
	v_pk_add_f16 v8, v8, v47 op_sel_hi:[1,0]
	v_pk_fma_f16 v46, v20, s15, v14 op_sel_hi:[0,1,1]
	v_add_f16_e32 v21, v57, v50
	v_pk_add_f16 v8, v8, v46
	v_pk_mul_f16 v46, v10, s37 op_sel_hi:[0,1]
	v_sub_f16_e32 v11, v11, v17
	v_pk_fma_f16 v48, v21, s18, v46 op_sel_hi:[0,1,1]
	v_add_f16_e32 v18, v56, v51
	v_pk_add_f16 v8, v8, v48
	v_pk_mul_f16 v48, v11, s40 op_sel_hi:[0,1]
	v_pk_fma_f16 v9, v0, s8, v9 op_sel_hi:[0,1,1] neg_lo:[0,0,1] neg_hi:[0,0,1]
	v_sub_f16_e32 v12, v12, v16
	v_pk_fma_f16 v49, v18, s21, v48 op_sel_hi:[0,1,1]
	v_pk_add_f16 v9, v9, v47 op_sel_hi:[1,0]
	v_pk_fma_f16 v14, v20, s15, v14 op_sel_hi:[0,1,1] neg_lo:[0,0,1] neg_hi:[0,0,1]
	v_add_f16_e32 v17, v55, v52
	v_pk_add_f16 v8, v8, v49
	v_pk_mul_f16 v49, v12, s43 op_sel_hi:[0,1]
	v_pk_add_f16 v9, v9, v14
	v_pk_fma_f16 v14, v21, s18, v46 op_sel_hi:[0,1,1] neg_lo:[0,0,1] neg_hi:[0,0,1]
	v_pk_fma_f16 v50, v17, s24, v49 op_sel_hi:[0,1,1]
	v_pk_add_f16 v9, v9, v14
	v_pk_fma_f16 v14, v18, s21, v48 op_sel_hi:[0,1,1] neg_lo:[0,0,1] neg_hi:[0,0,1]
	v_add_f16_e32 v16, v54, v53
	v_pk_add_f16 v8, v8, v50
	v_pk_mul_f16 v50, v13, s46 op_sel_hi:[0,1]
	v_pk_add_f16 v9, v9, v14
	v_pk_fma_f16 v14, v17, s24, v49 op_sel_hi:[0,1,1] neg_lo:[0,0,1] neg_hi:[0,0,1]
	v_pk_fma_f16 v51, v16, s27, v50 op_sel_hi:[0,1,1]
	v_pk_add_f16 v9, v9, v14
	v_pk_fma_f16 v14, v16, s27, v50 op_sel_hi:[0,1,1] neg_lo:[0,0,1] neg_hi:[0,0,1]
	v_pk_add_f16 v8, v8, v51
	v_pk_add_f16 v51, v9, v14
	v_pk_mul_f16 v14, v6, s31 op_sel_hi:[0,1]
	v_pk_fma_f16 v9, v0, s9, v14 op_sel_hi:[0,1,1]
	v_pk_mul_f16 v46, v19, s35 op_sel_hi:[0,1]
	v_pk_add_f16 v9, v9, v47 op_sel_hi:[1,0]
	v_pk_fma_f16 v48, v20, s16, v46 op_sel_hi:[0,1,1]
	v_pk_add_f16 v9, v9, v48
	v_pk_mul_f16 v48, v10, s38 op_sel_hi:[0,1]
	v_pk_fma_f16 v49, v21, s19, v48 op_sel_hi:[0,1,1]
	v_pk_add_f16 v9, v9, v49
	v_pk_mul_f16 v49, v11, s41 op_sel_hi:[0,1]
	v_pk_fma_f16 v14, v0, s9, v14 op_sel_hi:[0,1,1] neg_lo:[0,0,1] neg_hi:[0,0,1]
	v_pk_fma_f16 v50, v18, s22, v49 op_sel_hi:[0,1,1]
	v_pk_add_f16 v14, v14, v47 op_sel_hi:[1,0]
	v_pk_fma_f16 v46, v20, s16, v46 op_sel_hi:[0,1,1] neg_lo:[0,0,1] neg_hi:[0,0,1]
	v_pk_add_f16 v9, v9, v50
	v_pk_mul_f16 v50, v12, s44 op_sel_hi:[0,1]
	v_pk_add_f16 v14, v14, v46
	v_pk_fma_f16 v46, v21, s19, v48 op_sel_hi:[0,1,1] neg_lo:[0,0,1] neg_hi:[0,0,1]
	v_pk_fma_f16 v52, v17, s25, v50 op_sel_hi:[0,1,1]
	v_pk_add_f16 v14, v14, v46
	v_pk_fma_f16 v46, v18, s22, v49 op_sel_hi:[0,1,1] neg_lo:[0,0,1] neg_hi:[0,0,1]
	v_pk_add_f16 v9, v9, v52
	v_pk_mul_f16 v52, v13, s47 op_sel_hi:[0,1]
	v_pk_add_f16 v14, v14, v46
	v_pk_fma_f16 v46, v17, s25, v50 op_sel_hi:[0,1,1] neg_lo:[0,0,1] neg_hi:[0,0,1]
	v_pk_add_f16 v14, v14, v46
	v_pk_fma_f16 v46, v16, s28, v52 op_sel_hi:[0,1,1] neg_lo:[0,0,1] neg_hi:[0,0,1]
	v_pk_mul_f16 v6, v6, s33 op_sel_hi:[0,1]
	v_pk_fma_f16 v53, v16, s28, v52 op_sel_hi:[0,1,1]
	v_pk_add_f16 v52, v14, v46
	v_pk_fma_f16 v14, v0, s14, v6 op_sel_hi:[0,1,1]
	v_pk_mul_f16 v19, v19, s36 op_sel_hi:[0,1]
	v_pk_add_f16 v14, v14, v47 op_sel_hi:[1,0]
	v_pk_fma_f16 v46, v20, s17, v19 op_sel_hi:[0,1,1]
	v_pk_fma_f16 v0, v0, s14, v6 op_sel_hi:[0,1,1] neg_lo:[0,0,1] neg_hi:[0,0,1]
	v_pk_add_f16 v14, v14, v46
	v_pk_mul_f16 v46, v10, s39 op_sel_hi:[0,1]
	v_pk_add_f16 v0, v0, v47 op_sel_hi:[1,0]
	v_pk_fma_f16 v6, v20, s17, v19 op_sel_hi:[0,1,1] neg_lo:[0,0,1] neg_hi:[0,0,1]
	v_pk_mul_f16 v11, v11, s42 op_sel_hi:[0,1]
	v_pk_add_f16 v0, v0, v6
	v_pk_fma_f16 v6, v21, s20, v46 op_sel_hi:[0,1,1] neg_lo:[0,0,1] neg_hi:[0,0,1]
	v_pk_fma_f16 v10, v21, s20, v46 op_sel_hi:[0,1,1]
	v_pk_mul_f16 v12, v12, s45 op_sel_hi:[0,1]
	v_pk_add_f16 v0, v0, v6
	v_pk_fma_f16 v6, v18, s23, v11 op_sel_hi:[0,1,1] neg_lo:[0,0,1] neg_hi:[0,0,1]
	v_pk_add_f16 v10, v14, v10
	v_pk_fma_f16 v14, v18, s23, v11 op_sel_hi:[0,1,1]
	v_pk_mul_f16 v13, v13, s48 op_sel_hi:[0,1]
	v_pk_add_f16 v0, v0, v6
	v_pk_fma_f16 v6, v17, s26, v12 op_sel_hi:[0,1,1] neg_lo:[0,0,1] neg_hi:[0,0,1]
	v_pk_add_f16 v10, v10, v14
	v_pk_fma_f16 v14, v17, s26, v12 op_sel_hi:[0,1,1]
	v_pk_add_f16 v0, v0, v6
	v_pk_fma_f16 v6, v16, s29, v13 op_sel_hi:[0,1,1] neg_lo:[0,0,1] neg_hi:[0,0,1]
	s_movk_i32 s6, 0xffe8
	v_pk_add_f16 v10, v10, v14
	v_pk_fma_f16 v14, v16, s29, v13 op_sel_hi:[0,1,1]
	v_pk_add_f16 v11, v0, v6
	v_mad_i32_i24 v0, v7, s6, v5
	v_pk_add_f16 v10, v10, v14
	s_waitcnt lgkmcnt(0)
	s_barrier
	ds_read_u16 v19, v0 offset:1404
	ds_read_u16 v18, v0 offset:1638
	ds_read_u16 v16, v0
	ds_read_u16 v14, v0 offset:234
	ds_read_u16 v13, v0 offset:468
	;; [unrolled: 1-line block ×12, first 2 shown]
	v_pk_add_f16 v9, v9, v53
	v_alignbit_b32 v11, v11, v11, 16
	s_waitcnt lgkmcnt(0)
	s_barrier
	ds_write_b128 v5, v[8:11] offset:2
	v_alignbit_b32 v8, v52, v52, 16
	v_alignbit_b32 v9, v51, v51, 16
	ds_write_b16 v5, v60
	ds_write_b64 v5, v[8:9] offset:18
	s_and_saveexec_b64 s[6:7], s[0:1]
	s_cbranch_execz .LBB0_19
; %bb.18:
	v_add_f16_e32 v8, v15, v41
	v_add_f16_e32 v8, v8, v39
	v_add_f16_e32 v8, v8, v38
	v_add_f16_e32 v8, v8, v37
	v_add_f16_e32 v8, v8, v35
	v_add_f16_e32 v8, v8, v34
	v_add_f16_e32 v8, v8, v36
	v_add_f16_e32 v8, v40, v8
	v_add_f16_e32 v8, v42, v8
	v_add_f16_e32 v8, v43, v8
	v_sub_f16_e32 v10, v28, v33
	s_mov_b32 s1, 0xba95b770
	v_add_f16_e32 v8, v44, v8
	v_add_f16_e32 v41, v41, v45
	v_sub_f16_e32 v27, v27, v32
	s_mov_b32 s0, 0x388b3b15
	v_pk_mul_f16 v9, v10, s1 op_sel_hi:[0,1]
	s_mov_b32 s8, 0xbb7bba95
	v_add_f16_e32 v11, v45, v8
	v_add_f16_e32 v28, v39, v44
	v_sub_f16_e32 v22, v22, v24
	v_pk_fma_f16 v8, v41, s0, v9 op_sel_hi:[0,1,1]
	s_mov_b32 s1, 0xb5ac388b
	v_pk_mul_f16 v24, v27, s8 op_sel_hi:[0,1]
	v_sub_f16_e32 v26, v26, v31
	v_pk_add_f16 v8, v15, v8 op_sel_hi:[0,1]
	v_pk_fma_f16 v33, v28, s1, v24 op_sel_hi:[0,1,1]
	s_mov_b32 s9, 0xb3a8bbf1
	v_add_f16_e32 v32, v38, v43
	v_pk_add_f16 v8, v8, v33
	s_mov_b32 s8, 0xbbc42fb7
	v_pk_mul_f16 v33, v26, s9 op_sel_hi:[0,1]
	v_sub_f16_e32 v25, v25, v30
	v_sub_f16_e32 v23, v23, v29
	v_add_f16_e32 v29, v34, v36
	v_pk_fma_f16 v34, v32, s8, v33 op_sel_hi:[0,1,1]
	s_mov_b32 s14, 0x394ebb7b
	v_add_f16_e32 v31, v37, v42
	v_pk_add_f16 v8, v8, v34
	s_mov_b32 s9, 0xb9fdb5ac
	v_pk_mul_f16 v34, v25, s14 op_sel_hi:[0,1]
	v_pk_fma_f16 v9, v41, s0, v9 op_sel_hi:[0,1,1] neg_lo:[0,0,1] neg_hi:[0,0,1]
	v_add_f16_e32 v30, v35, v40
	v_pk_fma_f16 v35, v31, s9, v34 op_sel_hi:[0,1,1]
	s_mov_b32 s15, 0x3bf1b94e
	v_pk_add_f16 v9, v15, v9 op_sel_hi:[0,1]
	v_pk_fma_f16 v24, v28, s1, v24 op_sel_hi:[0,1,1] neg_lo:[0,0,1] neg_hi:[0,0,1]
	v_pk_add_f16 v8, v8, v35
	s_mov_b32 s14, 0x2fb7b9fd
	v_pk_mul_f16 v35, v23, s15 op_sel_hi:[0,1]
	v_pk_add_f16 v9, v9, v24
	v_pk_fma_f16 v24, v32, s8, v33 op_sel_hi:[0,1,1] neg_lo:[0,0,1] neg_hi:[0,0,1]
	v_pk_fma_f16 v36, v30, s14, v35 op_sel_hi:[0,1,1]
	s_mov_b32 s16, 0x3770b3a8
	v_pk_add_f16 v9, v9, v24
	v_pk_fma_f16 v24, v31, s9, v34 op_sel_hi:[0,1,1] neg_lo:[0,0,1] neg_hi:[0,0,1]
	v_pk_add_f16 v8, v8, v36
	s_mov_b32 s15, 0x3b15bbc4
	v_pk_mul_f16 v36, v22, s16 op_sel_hi:[0,1]
	v_pk_add_f16 v9, v9, v24
	v_pk_fma_f16 v24, v30, s14, v35 op_sel_hi:[0,1,1] neg_lo:[0,0,1] neg_hi:[0,0,1]
	s_mov_b32 s1, 0xbb7bbbf1
	v_pk_add_f16 v9, v9, v24
	v_pk_fma_f16 v24, v29, s15, v36 op_sel_hi:[0,1,1] neg_lo:[0,0,1] neg_hi:[0,0,1]
	s_mov_b32 s0, 0xb5ac2fb7
	v_pk_mul_f16 v33, v10, s1 op_sel_hi:[0,1]
	s_mov_b32 s8, 0x394eb3a8
	v_pk_add_f16 v24, v9, v24
	v_pk_fma_f16 v9, v41, s0, v33 op_sel_hi:[0,1,1]
	s_mov_b32 s1, 0xb9fdbbc4
	v_pk_mul_f16 v34, v27, s8 op_sel_hi:[0,1]
	v_pk_add_f16 v9, v15, v9 op_sel_hi:[0,1]
	v_pk_fma_f16 v35, v28, s1, v34 op_sel_hi:[0,1,1]
	s_mov_b32 s9, 0x37703b7b
	v_pk_add_f16 v9, v9, v35
	s_mov_b32 s8, 0x3b15b5ac
	v_pk_mul_f16 v35, v26, s9 op_sel_hi:[0,1]
	v_pk_fma_f16 v37, v29, s15, v36 op_sel_hi:[0,1,1]
	v_pk_fma_f16 v36, v32, s8, v35 op_sel_hi:[0,1,1]
	s_mov_b32 s14, 0xbbf13770
	v_pk_add_f16 v9, v9, v36
	s_mov_b32 s9, 0x2fb73b15
	v_pk_mul_f16 v36, v25, s14 op_sel_hi:[0,1]
	v_pk_fma_f16 v33, v41, s0, v33 op_sel_hi:[0,1,1] neg_lo:[0,0,1] neg_hi:[0,0,1]
	v_pk_add_f16 v8, v8, v37
	v_pk_fma_f16 v37, v31, s9, v36 op_sel_hi:[0,1,1]
	s_mov_b32 s15, 0x33a8ba95
	v_pk_add_f16 v33, v15, v33 op_sel_hi:[0,1]
	v_pk_fma_f16 v34, v28, s1, v34 op_sel_hi:[0,1,1] neg_lo:[0,0,1] neg_hi:[0,0,1]
	v_pk_add_f16 v9, v9, v37
	s_mov_b32 s14, 0xbbc4388b
	v_pk_mul_f16 v37, v23, s15 op_sel_hi:[0,1]
	v_pk_add_f16 v33, v33, v34
	v_pk_fma_f16 v34, v32, s8, v35 op_sel_hi:[0,1,1] neg_lo:[0,0,1] neg_hi:[0,0,1]
	v_pk_fma_f16 v38, v30, s14, v37 op_sel_hi:[0,1,1]
	s_mov_b32 s16, 0x3a95b94e
	v_pk_add_f16 v33, v33, v34
	v_pk_fma_f16 v34, v31, s9, v36 op_sel_hi:[0,1,1] neg_lo:[0,0,1] neg_hi:[0,0,1]
	v_pk_add_f16 v9, v9, v38
	s_mov_b32 s15, 0x388bb9fd
	v_pk_mul_f16 v38, v22, s16 op_sel_hi:[0,1]
	v_pk_add_f16 v33, v33, v34
	v_pk_fma_f16 v34, v30, s14, v37 op_sel_hi:[0,1,1] neg_lo:[0,0,1] neg_hi:[0,0,1]
	v_pk_add_f16 v33, v33, v34
	v_pk_fma_f16 v34, v29, s15, v38 op_sel_hi:[0,1,1] neg_lo:[0,0,1] neg_hi:[0,0,1]
	s_mov_b32 s1, 0xb3a8b94e
	v_pk_add_f16 v33, v33, v34
	s_mov_b32 s0, 0xbbc4b9fd
	v_pk_mul_f16 v34, v10, s1 op_sel_hi:[0,1]
	s_mov_b32 s8, 0x37703bf1
	v_pk_fma_f16 v10, v41, s0, v34 op_sel_hi:[0,1,1]
	s_mov_b32 s1, 0x3b152fb7
	v_pk_mul_f16 v27, v27, s8 op_sel_hi:[0,1]
	s_mov_b32 s9, 0xb94eba95
	v_pk_fma_f16 v34, v41, s0, v34 op_sel_hi:[0,1,1] neg_lo:[0,0,1] neg_hi:[0,0,1]
	v_pk_add_f16 v10, v15, v10 op_sel_hi:[0,1]
	v_pk_fma_f16 v35, v28, s1, v27 op_sel_hi:[0,1,1]
	s_mov_b32 s8, 0xb9fd388b
	v_pk_mul_f16 v26, v26, s9 op_sel_hi:[0,1]
	s_mov_b32 s14, 0x3a9533a8
	v_pk_add_f16 v15, v15, v34 op_sel_hi:[0,1]
	v_pk_fma_f16 v27, v28, s1, v27 op_sel_hi:[0,1,1] neg_lo:[0,0,1] neg_hi:[0,0,1]
	v_pk_fma_f16 v39, v29, s15, v38 op_sel_hi:[0,1,1]
	v_pk_add_f16 v10, v10, v35
	v_pk_fma_f16 v35, v32, s8, v26 op_sel_hi:[0,1,1]
	s_mov_b32 s9, 0x388bbbc4
	v_pk_mul_f16 v25, v25, s14 op_sel_hi:[0,1]
	s_mov_b32 s15, 0xbb7b3770
	v_pk_add_f16 v15, v15, v27
	v_pk_fma_f16 v26, v32, s8, v26 op_sel_hi:[0,1,1] neg_lo:[0,0,1] neg_hi:[0,0,1]
	v_pk_add_f16 v10, v10, v35
	v_pk_fma_f16 v35, v31, s9, v25 op_sel_hi:[0,1,1]
	s_mov_b32 s14, 0xb5ac3b15
	v_pk_mul_f16 v23, v23, s15 op_sel_hi:[0,1]
	s_mov_b32 s16, 0x3bf1bb7b
	v_pk_add_f16 v15, v15, v26
	v_pk_fma_f16 v25, v31, s9, v25 op_sel_hi:[0,1,1] neg_lo:[0,0,1] neg_hi:[0,0,1]
	v_pk_add_f16 v10, v10, v35
	v_pk_fma_f16 v35, v30, s14, v23 op_sel_hi:[0,1,1]
	s_mov_b32 s15, 0x2fb7b5ac
	v_pk_mul_f16 v22, v22, s16 op_sel_hi:[0,1]
	v_pk_add_f16 v15, v15, v25
	v_pk_fma_f16 v23, v30, s14, v23 op_sel_hi:[0,1,1] neg_lo:[0,0,1] neg_hi:[0,0,1]
	v_pk_add_f16 v10, v10, v35
	v_pk_fma_f16 v35, v29, s15, v22 op_sel_hi:[0,1,1]
	v_pk_add_f16 v15, v15, v23
	v_pk_fma_f16 v22, v29, s15, v22 op_sel_hi:[0,1,1] neg_lo:[0,0,1] neg_hi:[0,0,1]
	v_pk_add_f16 v15, v15, v22
	v_pk_add_f16 v9, v9, v39
	;; [unrolled: 1-line block ×3, first 2 shown]
	ds_write_b16 v5, v11 offset:3042
	v_alignbit_b32 v11, v15, v15, 16
	ds_write_b128 v5, v[8:11] offset:3044
	v_alignbit_b32 v8, v33, v33, 16
	v_alignbit_b32 v9, v24, v24, 16
	ds_write_b64 v5, v[8:9] offset:3060
.LBB0_19:
	s_or_b64 exec, exec, s[6:7]
	v_add_u32_e32 v8, 0x75, v7
	s_movk_i32 s0, 0x4f
	v_mul_lo_u16_sdwa v5, v7, s0 dst_sel:DWORD dst_unused:UNUSED_PAD src0_sel:BYTE_0 src1_sel:DWORD
	v_mul_lo_u16_sdwa v22, v8, s0 dst_sel:DWORD dst_unused:UNUSED_PAD src0_sel:BYTE_0 src1_sel:DWORD
	v_lshrrev_b16_e32 v5, 10, v5
	v_lshrrev_b16_e32 v33, 10, v22
	v_add_u32_e32 v9, 0xea, v7
	v_mul_lo_u16_e32 v11, 13, v5
	v_mul_lo_u16_e32 v22, 13, v33
	s_movk_i32 s0, 0x4ec5
	v_sub_u16_e32 v15, v7, v11
	v_mov_b32_e32 v32, 3
	v_sub_u16_e32 v34, v8, v22
	v_mul_u32_u24_sdwa v25, v9, s0 dst_sel:DWORD dst_unused:UNUSED_PAD src0_sel:WORD_0 src1_sel:DWORD
	v_lshlrev_b32_sdwa v11, v32, v15 dst_sel:DWORD dst_unused:UNUSED_PAD src0_sel:DWORD src1_sel:BYTE_0
	v_lshlrev_b32_sdwa v24, v32, v34 dst_sel:DWORD dst_unused:UNUSED_PAD src0_sel:DWORD src1_sel:BYTE_0
	v_lshrrev_b32_e32 v35, 18, v25
	v_add_u32_e32 v10, 0x15f, v7
	s_waitcnt lgkmcnt(0)
	s_barrier
	global_load_dwordx2 v[22:23], v11, s[12:13]
	v_mul_u32_u24_sdwa v26, v10, s0 dst_sel:DWORD dst_unused:UNUSED_PAD src0_sel:WORD_0 src1_sel:DWORD
	global_load_dwordx2 v[24:25], v24, s[12:13]
	v_mul_lo_u16_e32 v11, 13, v35
	v_sub_u16_e32 v36, v9, v11
	v_lshlrev_b32_e32 v11, 3, v36
	v_lshrrev_b32_e32 v37, 18, v26
	global_load_dwordx2 v[26:27], v11, s[12:13]
	v_mul_lo_u16_e32 v11, 13, v37
	v_sub_u16_e32 v38, v10, v11
	v_lshlrev_b32_e32 v11, 3, v38
	global_load_dwordx2 v[28:29], v11, s[12:13]
	v_add_u32_e32 v11, 0x1d4, v7
	v_mul_u32_u24_sdwa v30, v11, s0 dst_sel:DWORD dst_unused:UNUSED_PAD src0_sel:WORD_0 src1_sel:DWORD
	v_lshrrev_b32_e32 v39, 18, v30
	v_mul_lo_u16_e32 v30, 13, v39
	v_sub_u16_e32 v40, v11, v30
	v_lshlrev_b32_e32 v30, 3, v40
	global_load_dwordx2 v[30:31], v30, s[12:13]
	ds_read_u16 v41, v0 offset:1404
	ds_read_u16 v42, v0 offset:1638
	ds_read_u16 v43, v0
	ds_read_u16 v44, v0 offset:234
	ds_read_u16 v45, v0 offset:468
	;; [unrolled: 1-line block ×12, first 2 shown]
	s_movk_i32 s6, 0x3aee
	s_mov_b32 s7, 0xbaee
	v_mov_b32_e32 v61, 1
	v_lshlrev_b32_sdwa v15, v61, v15 dst_sel:DWORD dst_unused:UNUSED_PAD src0_sel:DWORD src1_sel:BYTE_0
	v_mul_u32_u24_e32 v5, 0x4e, v5
	v_lshlrev_b32_sdwa v34, v61, v34 dst_sel:DWORD dst_unused:UNUSED_PAD src0_sel:DWORD src1_sel:BYTE_0
	v_add3_u32 v5, 0, v5, v15
	v_mul_u32_u24_e32 v15, 0x4e, v33
	v_add3_u32 v15, 0, v15, v34
	v_lshlrev_b32_e32 v36, 1, v36
	s_waitcnt vmcnt(0) lgkmcnt(0)
	s_barrier
	v_lshlrev_b32_e32 v38, 1, v38
	v_lshlrev_b32_e32 v40, 1, v40
	s_movk_i32 s0, 0xa5
	v_mul_f16_sdwa v62, v53, v22 dst_sel:DWORD dst_unused:UNUSED_PAD src0_sel:DWORD src1_sel:WORD_1
	v_mul_f16_sdwa v64, v59, v23 dst_sel:DWORD dst_unused:UNUSED_PAD src0_sel:DWORD src1_sel:WORD_1
	;; [unrolled: 1-line block ×11, first 2 shown]
	v_fma_f16 v18, v18, v26, -v70
	v_fma_f16 v26, v42, v26, v71
	v_fma_f16 v42, v47, v27, -v72
	v_mul_f16_sdwa v47, v57, v29 dst_sel:DWORD dst_unused:UNUSED_PAD src0_sel:DWORD src1_sel:WORD_1
	v_fma_f16 v47, v46, v29, -v47
	v_mul_f16_sdwa v46, v46, v29 dst_sel:DWORD dst_unused:UNUSED_PAD src0_sel:DWORD src1_sel:WORD_1
	v_fma_f16 v29, v57, v29, v46
	v_mul_f16_sdwa v46, v60, v30 dst_sel:DWORD dst_unused:UNUSED_PAD src0_sel:DWORD src1_sel:WORD_1
	v_fma_f16 v46, v21, v30, -v46
	v_mul_f16_sdwa v21, v21, v30 dst_sel:DWORD dst_unused:UNUSED_PAD src0_sel:DWORD src1_sel:WORD_1
	v_fma_f16 v49, v49, v22, -v62
	v_fma_f16 v50, v50, v23, -v64
	v_fma_f16 v21, v60, v30, v21
	v_mul_f16_sdwa v30, v58, v31 dst_sel:DWORD dst_unused:UNUSED_PAD src0_sel:DWORD src1_sel:WORD_1
	v_mul_f16_sdwa v69, v48, v25 dst_sel:DWORD dst_unused:UNUSED_PAD src0_sel:DWORD src1_sel:WORD_1
	v_fma_f16 v22, v53, v22, v63
	v_fma_f16 v23, v59, v23, v65
	v_fma_f16 v19, v19, v24, -v66
	v_fma_f16 v24, v41, v24, v67
	v_fma_f16 v41, v48, v25, -v68
	v_fma_f16 v30, v17, v31, -v30
	v_mul_f16_sdwa v17, v17, v31 dst_sel:DWORD dst_unused:UNUSED_PAD src0_sel:DWORD src1_sel:WORD_1
	v_add_f16_e32 v48, v49, v50
	v_mul_f16_sdwa v74, v52, v28 dst_sel:DWORD dst_unused:UNUSED_PAD src0_sel:DWORD src1_sel:WORD_1
	v_mul_f16_sdwa v75, v20, v28 dst_sel:DWORD dst_unused:UNUSED_PAD src0_sel:DWORD src1_sel:WORD_1
	v_fma_f16 v17, v58, v31, v17
	v_add_f16_e32 v31, v16, v49
	v_fma_f16 v16, v48, -0.5, v16
	v_sub_f16_e32 v48, v22, v23
	v_fma_f16 v20, v20, v28, -v74
	v_fma_f16 v28, v52, v28, v75
	v_fma_f16 v52, v48, s6, v16
	;; [unrolled: 1-line block ×3, first 2 shown]
	v_add_f16_e32 v48, v43, v22
	v_add_f16_e32 v22, v22, v23
	v_fma_f16 v25, v55, v25, v69
	v_add_f16_e32 v48, v48, v23
	v_fma_f16 v22, v22, -0.5, v43
	v_sub_f16_e32 v23, v49, v50
	v_add_f16_e32 v49, v19, v41
	v_fma_f16 v43, v23, s7, v22
	v_fma_f16 v22, v23, s6, v22
	v_add_f16_e32 v23, v14, v19
	v_fma_f16 v14, v49, -0.5, v14
	v_sub_f16_e32 v49, v24, v25
	v_add_f16_e32 v31, v31, v50
	v_fma_f16 v50, v49, s6, v14
	v_fma_f16 v14, v49, s7, v14
	v_add_f16_e32 v49, v44, v24
	v_add_f16_e32 v24, v24, v25
	v_fma_f16 v27, v56, v27, v73
	v_add_f16_e32 v23, v23, v41
	v_fma_f16 v24, v24, -0.5, v44
	v_sub_f16_e32 v19, v19, v41
	v_add_f16_e32 v41, v18, v42
	v_add_f16_e32 v49, v49, v25
	v_fma_f16 v25, v19, s7, v24
	v_fma_f16 v19, v19, s6, v24
	v_add_f16_e32 v24, v13, v18
	v_fma_f16 v13, v41, -0.5, v13
	v_sub_f16_e32 v41, v26, v27
	v_fma_f16 v44, v41, s6, v13
	v_fma_f16 v13, v41, s7, v13
	v_add_f16_e32 v41, v45, v26
	v_add_f16_e32 v26, v26, v27
	;; [unrolled: 1-line block ×3, first 2 shown]
	v_fma_f16 v26, v26, -0.5, v45
	v_sub_f16_e32 v18, v18, v42
	v_add_f16_e32 v42, v20, v47
	v_add_f16_e32 v41, v41, v27
	v_fma_f16 v27, v18, s7, v26
	v_fma_f16 v18, v18, s6, v26
	v_add_f16_e32 v26, v12, v20
	v_fma_f16 v12, v42, -0.5, v12
	v_sub_f16_e32 v42, v28, v29
	v_fma_f16 v45, v42, s6, v12
	v_fma_f16 v12, v42, s7, v12
	v_add_f16_e32 v42, v51, v28
	v_add_f16_e32 v28, v28, v29
	ds_write_b16 v5, v31
	ds_write_b16 v5, v52 offset:26
	ds_write_b16 v5, v16 offset:52
	ds_write_b16 v15, v23
	ds_write_b16 v15, v50 offset:26
	ds_write_b16 v15, v14 offset:52
	v_mul_u32_u24_e32 v14, 0x4e, v35
	v_add_f16_e32 v26, v26, v47
	v_fma_f16 v28, v28, -0.5, v51
	v_sub_f16_e32 v20, v20, v47
	v_add_f16_e32 v47, v46, v30
	v_add3_u32 v14, 0, v14, v36
	v_add_f16_e32 v42, v42, v29
	v_fma_f16 v29, v20, s7, v28
	v_fma_f16 v20, v20, s6, v28
	v_add_f16_e32 v28, v6, v46
	v_fma_f16 v6, v47, -0.5, v6
	v_sub_f16_e32 v47, v21, v17
	ds_write_b16 v14, v24
	ds_write_b16 v14, v44 offset:26
	ds_write_b16 v14, v13 offset:52
	v_mul_u32_u24_e32 v13, 0x4e, v37
	v_fma_f16 v51, v47, s6, v6
	v_fma_f16 v6, v47, s7, v6
	v_add_f16_e32 v47, v54, v21
	v_add3_u32 v13, 0, v13, v38
	v_add_f16_e32 v47, v47, v17
	v_add_f16_e32 v17, v21, v17
	ds_write_b16 v13, v26
	ds_write_b16 v13, v45 offset:26
	ds_write_b16 v13, v12 offset:52
	v_mul_u32_u24_e32 v12, 0x4e, v39
	v_add_f16_e32 v28, v28, v30
	v_fma_f16 v17, v17, -0.5, v54
	v_sub_f16_e32 v21, v46, v30
	v_add3_u32 v12, 0, v12, v40
	v_fma_f16 v30, v21, s7, v17
	v_fma_f16 v17, v21, s6, v17
	ds_write_b16 v12, v28
	ds_write_b16 v12, v51 offset:26
	ds_write_b16 v12, v6 offset:52
	s_waitcnt lgkmcnt(0)
	s_barrier
	ds_read_u16 v21, v0 offset:1404
	ds_read_u16 v23, v0 offset:1638
	ds_read_u16 v24, v0
	ds_read_u16 v26, v0 offset:234
	ds_read_u16 v28, v0 offset:468
	;; [unrolled: 1-line block ×12, first 2 shown]
	s_waitcnt lgkmcnt(0)
	s_barrier
	ds_write_b16 v5, v48
	ds_write_b16 v5, v43 offset:26
	ds_write_b16 v5, v22 offset:52
	ds_write_b16 v15, v49
	ds_write_b16 v15, v25 offset:26
	ds_write_b16 v15, v19 offset:52
	ds_write_b16 v14, v41
	ds_write_b16 v14, v27 offset:26
	ds_write_b16 v14, v18 offset:52
	ds_write_b16 v13, v42
	ds_write_b16 v13, v29 offset:26
	ds_write_b16 v13, v20 offset:52
	ds_write_b16 v12, v47
	ds_write_b16 v12, v30 offset:26
	ds_write_b16 v12, v17 offset:52
	v_mul_lo_u16_sdwa v5, v7, s0 dst_sel:DWORD dst_unused:UNUSED_PAD src0_sel:BYTE_0 src1_sel:DWORD
	v_sub_u16_sdwa v6, v7, v5 dst_sel:DWORD dst_unused:UNUSED_PAD src0_sel:DWORD src1_sel:BYTE_1
	v_lshrrev_b16_e32 v6, 1, v6
	v_and_b32_e32 v6, 0x7f, v6
	v_add_u16_sdwa v5, v6, v5 dst_sel:DWORD dst_unused:UNUSED_PAD src0_sel:DWORD src1_sel:BYTE_1
	v_mul_lo_u16_sdwa v12, v8, s0 dst_sel:DWORD dst_unused:UNUSED_PAD src0_sel:BYTE_0 src1_sel:DWORD
	v_lshrrev_b16_e32 v5, 5, v5
	v_sub_u16_sdwa v6, v8, v12 dst_sel:DWORD dst_unused:UNUSED_PAD src0_sel:DWORD src1_sel:BYTE_1
	v_and_b32_e32 v20, 7, v5
	v_lshrrev_b16_e32 v13, 1, v6
	v_mul_lo_u16_e32 v5, 39, v20
	v_and_b32_e32 v13, 0x7f, v13
	v_sub_u16_e32 v22, v7, v5
	v_add_u16_sdwa v12, v13, v12 dst_sel:DWORD dst_unused:UNUSED_PAD src0_sel:DWORD src1_sel:BYTE_1
	v_lshlrev_b32_sdwa v5, v32, v22 dst_sel:DWORD dst_unused:UNUSED_PAD src0_sel:DWORD src1_sel:BYTE_0
	v_lshrrev_b16_e32 v12, 5, v12
	s_mov_b32 s0, 0xa41b
	s_waitcnt lgkmcnt(0)
	s_barrier
	global_load_dwordx2 v[5:6], v5, s[12:13] offset:104
	v_and_b32_e32 v25, 7, v12
	v_mul_u32_u24_sdwa v14, v9, s0 dst_sel:DWORD dst_unused:UNUSED_PAD src0_sel:WORD_0 src1_sel:DWORD
	v_mul_lo_u16_e32 v12, 39, v25
	v_sub_u16_sdwa v15, v9, v14 dst_sel:DWORD dst_unused:UNUSED_PAD src0_sel:DWORD src1_sel:WORD_1
	v_sub_u16_e32 v27, v8, v12
	v_lshrrev_b16_e32 v15, 1, v15
	v_lshlrev_b32_sdwa v12, v32, v27 dst_sel:DWORD dst_unused:UNUSED_PAD src0_sel:DWORD src1_sel:BYTE_0
	global_load_dwordx2 v[12:13], v12, s[12:13] offset:104
	v_add_u16_sdwa v14, v15, v14 dst_sel:DWORD dst_unused:UNUSED_PAD src0_sel:DWORD src1_sel:WORD_1
	v_lshrrev_b16_e32 v29, 5, v14
	v_mul_u32_u24_sdwa v16, v10, s0 dst_sel:DWORD dst_unused:UNUSED_PAD src0_sel:WORD_0 src1_sel:DWORD
	v_mul_lo_u16_e32 v14, 39, v29
	v_sub_u16_sdwa v17, v10, v16 dst_sel:DWORD dst_unused:UNUSED_PAD src0_sel:DWORD src1_sel:WORD_1
	v_sub_u16_e32 v30, v9, v14
	v_lshrrev_b16_e32 v17, 1, v17
	v_lshlrev_b32_e32 v14, 3, v30
	global_load_dwordx2 v[14:15], v14, s[12:13] offset:104
	v_add_u16_sdwa v16, v17, v16 dst_sel:DWORD dst_unused:UNUSED_PAD src0_sel:DWORD src1_sel:WORD_1
	v_lshrrev_b16_e32 v32, 5, v16
	v_mul_u32_u24_sdwa v18, v11, s0 dst_sel:DWORD dst_unused:UNUSED_PAD src0_sel:WORD_0 src1_sel:DWORD
	v_mul_lo_u16_e32 v16, 39, v32
	v_sub_u16_sdwa v19, v11, v18 dst_sel:DWORD dst_unused:UNUSED_PAD src0_sel:DWORD src1_sel:WORD_1
	v_sub_u16_e32 v41, v10, v16
	v_lshrrev_b16_e32 v19, 1, v19
	v_lshlrev_b32_e32 v16, 3, v41
	global_load_dwordx2 v[16:17], v16, s[12:13] offset:104
	v_add_u16_sdwa v18, v19, v18 dst_sel:DWORD dst_unused:UNUSED_PAD src0_sel:DWORD src1_sel:WORD_1
	v_lshrrev_b16_e32 v42, 5, v18
	v_mul_lo_u16_e32 v18, 39, v42
	v_sub_u16_e32 v43, v11, v18
	v_lshlrev_b32_e32 v18, 3, v43
	global_load_dwordx2 v[18:19], v18, s[12:13] offset:104
	ds_read_u16 v45, v0 offset:1404
	ds_read_u16 v46, v0 offset:1638
	ds_read_u16 v47, v0
	ds_read_u16 v48, v0 offset:234
	ds_read_u16 v49, v0 offset:468
	;; [unrolled: 1-line block ×12, first 2 shown]
	s_movk_i32 s0, 0xea
	v_lshlrev_b32_sdwa v22, v61, v22 dst_sel:DWORD dst_unused:UNUSED_PAD src0_sel:DWORD src1_sel:BYTE_0
	v_lshlrev_b32_sdwa v27, v61, v27 dst_sel:DWORD dst_unused:UNUSED_PAD src0_sel:DWORD src1_sel:BYTE_0
	v_lshlrev_b32_e32 v30, 1, v30
	s_waitcnt vmcnt(0) lgkmcnt(0)
	s_barrier
	v_mul_f16_sdwa v60, v52, v5 dst_sel:DWORD dst_unused:UNUSED_PAD src0_sel:DWORD src1_sel:WORD_1
	v_fma_f16 v60, v34, v5, -v60
	v_mul_f16_sdwa v34, v34, v5 dst_sel:DWORD dst_unused:UNUSED_PAD src0_sel:DWORD src1_sel:WORD_1
	v_fma_f16 v5, v52, v5, v34
	v_mul_f16_sdwa v34, v58, v6 dst_sel:DWORD dst_unused:UNUSED_PAD src0_sel:DWORD src1_sel:WORD_1
	v_fma_f16 v34, v40, v6, -v34
	v_mul_f16_sdwa v40, v40, v6 dst_sel:DWORD dst_unused:UNUSED_PAD src0_sel:DWORD src1_sel:WORD_1
	v_fma_f16 v6, v58, v6, v40
	;; [unrolled: 4-line block ×4, first 2 shown]
	v_add_f16_e32 v45, v60, v34
	v_mul_f16_sdwa v36, v46, v14 dst_sel:DWORD dst_unused:UNUSED_PAD src0_sel:DWORD src1_sel:WORD_1
	v_fma_f16 v36, v23, v14, -v36
	v_mul_f16_sdwa v23, v23, v14 dst_sel:DWORD dst_unused:UNUSED_PAD src0_sel:DWORD src1_sel:WORD_1
	v_fma_f16 v14, v46, v14, v23
	v_mul_f16_sdwa v23, v55, v15 dst_sel:DWORD dst_unused:UNUSED_PAD src0_sel:DWORD src1_sel:WORD_1
	v_fma_f16 v23, v37, v15, -v23
	v_mul_f16_sdwa v37, v37, v15 dst_sel:DWORD dst_unused:UNUSED_PAD src0_sel:DWORD src1_sel:WORD_1
	v_fma_f16 v15, v55, v15, v37
	v_lshlrev_b32_e32 v37, 1, v41
	v_mul_f16_sdwa v41, v51, v16 dst_sel:DWORD dst_unused:UNUSED_PAD src0_sel:DWORD src1_sel:WORD_1
	v_fma_f16 v41, v33, v16, -v41
	v_mul_f16_sdwa v33, v33, v16 dst_sel:DWORD dst_unused:UNUSED_PAD src0_sel:DWORD src1_sel:WORD_1
	v_fma_f16 v16, v51, v16, v33
	v_mul_f16_sdwa v33, v56, v17 dst_sel:DWORD dst_unused:UNUSED_PAD src0_sel:DWORD src1_sel:WORD_1
	v_fma_f16 v33, v38, v17, -v33
	v_mul_f16_sdwa v38, v38, v17 dst_sel:DWORD dst_unused:UNUSED_PAD src0_sel:DWORD src1_sel:WORD_1
	v_fma_f16 v17, v56, v17, v38
	v_lshlrev_b32_e32 v38, 1, v43
	v_mul_f16_sdwa v43, v59, v18 dst_sel:DWORD dst_unused:UNUSED_PAD src0_sel:DWORD src1_sel:WORD_1
	v_fma_f16 v43, v44, v18, -v43
	v_mul_f16_sdwa v44, v44, v18 dst_sel:DWORD dst_unused:UNUSED_PAD src0_sel:DWORD src1_sel:WORD_1
	v_fma_f16 v18, v59, v18, v44
	v_mul_f16_sdwa v44, v57, v19 dst_sel:DWORD dst_unused:UNUSED_PAD src0_sel:DWORD src1_sel:WORD_1
	v_fma_f16 v44, v39, v19, -v44
	v_mul_f16_sdwa v39, v39, v19 dst_sel:DWORD dst_unused:UNUSED_PAD src0_sel:DWORD src1_sel:WORD_1
	v_fma_f16 v19, v57, v19, v39
	v_add_f16_e32 v39, v24, v60
	v_fma_f16 v24, v45, -0.5, v24
	v_sub_f16_e32 v45, v5, v6
	v_fma_f16 v46, v45, s6, v24
	v_fma_f16 v24, v45, s7, v24
	v_add_f16_e32 v45, v47, v5
	v_add_f16_e32 v5, v5, v6
	v_add_f16_e32 v45, v45, v6
	v_fma_f16 v5, v5, -0.5, v47
	v_sub_f16_e32 v6, v60, v34
	v_add_f16_e32 v47, v40, v21
	v_add_f16_e32 v39, v39, v34
	v_fma_f16 v34, v6, s7, v5
	v_fma_f16 v5, v6, s6, v5
	v_add_f16_e32 v6, v26, v40
	v_fma_f16 v26, v47, -0.5, v26
	v_sub_f16_e32 v47, v12, v13
	v_fma_f16 v51, v47, s6, v26
	v_fma_f16 v26, v47, s7, v26
	v_add_f16_e32 v47, v48, v12
	v_add_f16_e32 v12, v12, v13
	v_add_f16_e32 v47, v47, v13
	v_fma_f16 v12, v12, -0.5, v48
	v_sub_f16_e32 v13, v40, v21
	v_add_f16_e32 v40, v36, v23
	v_add_f16_e32 v6, v6, v21
	v_fma_f16 v21, v13, s7, v12
	;; [unrolled: 14-line block ×4, first 2 shown]
	v_fma_f16 v16, v17, s6, v16
	v_add_f16_e32 v17, v35, v43
	v_fma_f16 v35, v41, -0.5, v35
	v_sub_f16_e32 v41, v18, v19
	v_fma_f16 v50, v41, s6, v35
	v_fma_f16 v35, v41, s7, v35
	v_add_f16_e32 v41, v53, v18
	v_add_f16_e32 v18, v18, v19
	;; [unrolled: 1-line block ×3, first 2 shown]
	v_fma_f16 v18, v18, -0.5, v53
	v_sub_f16_e32 v19, v43, v44
	v_fma_f16 v43, v19, s7, v18
	v_fma_f16 v18, v19, s6, v18
	v_mul_u32_u24_sdwa v19, v20, s0 dst_sel:DWORD dst_unused:UNUSED_PAD src0_sel:WORD_0 src1_sel:DWORD
	v_mul_u32_u24_sdwa v20, v25, s0 dst_sel:DWORD dst_unused:UNUSED_PAD src0_sel:WORD_0 src1_sel:DWORD
	v_add3_u32 v19, 0, v19, v22
	v_add3_u32 v20, 0, v20, v27
	ds_write_b16 v19, v39
	ds_write_b16 v19, v46 offset:78
	ds_write_b16 v19, v24 offset:156
	ds_write_b16 v20, v6
	ds_write_b16 v20, v51 offset:78
	ds_write_b16 v20, v26 offset:156
	v_mul_u32_u24_e32 v6, 0xea, v29
	v_add3_u32 v6, 0, v6, v30
	ds_write_b16 v6, v13
	ds_write_b16 v6, v48 offset:78
	ds_write_b16 v6, v28 offset:156
	v_mul_u32_u24_e32 v13, 0xea, v32
	v_add3_u32 v13, 0, v13, v37
	ds_write_b16 v13, v15
	ds_write_b16 v13, v49 offset:78
	ds_write_b16 v13, v31 offset:156
	v_mul_u32_u24_e32 v15, 0xea, v42
	v_add_f16_e32 v17, v17, v44
	v_add3_u32 v15, 0, v15, v38
	ds_write_b16 v15, v17
	ds_write_b16 v15, v50 offset:78
	ds_write_b16 v15, v35 offset:156
	s_waitcnt lgkmcnt(0)
	s_barrier
	ds_read_u16 v22, v0 offset:1404
	ds_read_u16 v24, v0 offset:1638
	ds_read_u16 v25, v0
	ds_read_u16 v26, v0 offset:234
	ds_read_u16 v27, v0 offset:468
	;; [unrolled: 1-line block ×12, first 2 shown]
	s_waitcnt lgkmcnt(0)
	s_barrier
	ds_write_b16 v19, v45
	ds_write_b16 v19, v34 offset:78
	ds_write_b16 v19, v5 offset:156
	ds_write_b16 v20, v47
	ds_write_b16 v20, v21 offset:78
	ds_write_b16 v20, v12 offset:156
	;; [unrolled: 3-line block ×5, first 2 shown]
	v_lshlrev_b32_e32 v5, 1, v7
	v_mov_b32_e32 v6, 0
	v_lshlrev_b64 v[12:13], 2, v[5:6]
	v_mov_b32_e32 v5, s13
	v_add_co_u32_e64 v12, s[0:1], s12, v12
	v_addc_co_u32_e64 v13, s[0:1], v5, v13, s[0:1]
	s_waitcnt lgkmcnt(0)
	s_barrier
	global_load_dwordx2 v[12:13], v[12:13], off offset:416
	s_mov_b32 s0, 0x8c09
	v_mul_u32_u24_sdwa v5, v9, s0 dst_sel:DWORD dst_unused:UNUSED_PAD src0_sel:WORD_0 src1_sel:DWORD
	v_lshrrev_b32_e32 v5, 22, v5
	v_mul_u32_u24_sdwa v16, v10, s0 dst_sel:DWORD dst_unused:UNUSED_PAD src0_sel:WORD_0 src1_sel:DWORD
	v_mul_lo_u16_e32 v5, 0x75, v5
	v_lshrrev_b32_e32 v16, 22, v16
	v_sub_u16_e32 v5, v9, v5
	v_mul_lo_u16_e32 v16, 0x75, v16
	v_lshlrev_b32_e32 v14, 3, v5
	v_sub_u16_e32 v18, v10, v16
	global_load_dwordx2 v[14:15], v14, s[12:13] offset:416
	v_lshlrev_b32_e32 v10, 3, v18
	global_load_dwordx2 v[16:17], v10, s[12:13] offset:416
	v_mul_u32_u24_sdwa v10, v11, s0 dst_sel:DWORD dst_unused:UNUSED_PAD src0_sel:WORD_0 src1_sel:DWORD
	v_lshrrev_b32_e32 v10, 22, v10
	v_mul_lo_u16_e32 v10, 0x75, v10
	v_sub_u16_e32 v19, v11, v10
	v_lshlrev_b32_e32 v10, 3, v19
	global_load_dwordx2 v[10:11], v10, s[12:13] offset:416
	ds_read_u16 v20, v0 offset:1404
	ds_read_u16 v21, v0 offset:1638
	ds_read_u16 v23, v0
	ds_read_u16 v33, v0 offset:234
	ds_read_u16 v34, v0 offset:468
	;; [unrolled: 1-line block ×12, first 2 shown]
	s_waitcnt vmcnt(0) lgkmcnt(0)
	s_barrier
	v_lshl_add_u32 v5, v5, 1, 0
	v_mul_f16_sdwa v50, v41, v12 dst_sel:DWORD dst_unused:UNUSED_PAD src0_sel:DWORD src1_sel:WORD_1
	v_fma_f16 v50, v30, v12, -v50
	v_mul_f16_sdwa v30, v30, v12 dst_sel:DWORD dst_unused:UNUSED_PAD src0_sel:DWORD src1_sel:WORD_1
	v_fma_f16 v30, v41, v12, v30
	v_mul_f16_sdwa v41, v48, v13 dst_sel:DWORD dst_unused:UNUSED_PAD src0_sel:DWORD src1_sel:WORD_1
	v_fma_f16 v41, v39, v13, -v41
	v_mul_f16_sdwa v39, v39, v13 dst_sel:DWORD dst_unused:UNUSED_PAD src0_sel:DWORD src1_sel:WORD_1
	v_fma_f16 v39, v48, v13, v39
	;; [unrolled: 4-line block ×3, first 2 shown]
	v_mul_f16_sdwa v20, v44, v13 dst_sel:DWORD dst_unused:UNUSED_PAD src0_sel:DWORD src1_sel:WORD_1
	v_mul_f16_sdwa v22, v32, v13 dst_sel:DWORD dst_unused:UNUSED_PAD src0_sel:DWORD src1_sel:WORD_1
	v_fma_f16 v20, v32, v13, -v20
	v_fma_f16 v13, v44, v13, v22
	v_mul_f16_sdwa v22, v21, v14 dst_sel:DWORD dst_unused:UNUSED_PAD src0_sel:DWORD src1_sel:WORD_1
	v_fma_f16 v22, v24, v14, -v22
	v_mul_f16_sdwa v24, v24, v14 dst_sel:DWORD dst_unused:UNUSED_PAD src0_sel:DWORD src1_sel:WORD_1
	v_fma_f16 v14, v21, v14, v24
	v_mul_f16_sdwa v21, v45, v15 dst_sel:DWORD dst_unused:UNUSED_PAD src0_sel:DWORD src1_sel:WORD_1
	v_mul_f16_sdwa v24, v35, v15 dst_sel:DWORD dst_unused:UNUSED_PAD src0_sel:DWORD src1_sel:WORD_1
	v_fma_f16 v21, v35, v15, -v21
	v_fma_f16 v15, v45, v15, v24
	v_mul_f16_sdwa v24, v40, v16 dst_sel:DWORD dst_unused:UNUSED_PAD src0_sel:DWORD src1_sel:WORD_1
	v_fma_f16 v24, v29, v16, -v24
	v_mul_f16_sdwa v29, v29, v16 dst_sel:DWORD dst_unused:UNUSED_PAD src0_sel:DWORD src1_sel:WORD_1
	v_fma_f16 v16, v40, v16, v29
	v_mul_f16_sdwa v29, v46, v17 dst_sel:DWORD dst_unused:UNUSED_PAD src0_sel:DWORD src1_sel:WORD_1
	v_mul_f16_sdwa v32, v37, v17 dst_sel:DWORD dst_unused:UNUSED_PAD src0_sel:DWORD src1_sel:WORD_1
	v_fma_f16 v29, v37, v17, -v29
	v_fma_f16 v17, v46, v17, v32
	v_mul_f16_sdwa v32, v49, v10 dst_sel:DWORD dst_unused:UNUSED_PAD src0_sel:DWORD src1_sel:WORD_1
	v_mul_f16_sdwa v35, v42, v10 dst_sel:DWORD dst_unused:UNUSED_PAD src0_sel:DWORD src1_sel:WORD_1
	v_fma_f16 v32, v42, v10, -v32
	v_fma_f16 v10, v49, v10, v35
	v_mul_f16_sdwa v35, v47, v11 dst_sel:DWORD dst_unused:UNUSED_PAD src0_sel:DWORD src1_sel:WORD_1
	v_fma_f16 v35, v38, v11, -v35
	v_mul_f16_sdwa v37, v38, v11 dst_sel:DWORD dst_unused:UNUSED_PAD src0_sel:DWORD src1_sel:WORD_1
	v_add_f16_e32 v38, v50, v41
	v_fma_f16 v11, v47, v11, v37
	v_add_f16_e32 v37, v25, v50
	v_fma_f16 v25, v38, -0.5, v25
	v_sub_f16_e32 v38, v30, v39
	v_fma_f16 v40, v38, s6, v25
	v_fma_f16 v25, v38, s7, v25
	v_add_f16_e32 v38, v23, v30
	v_add_f16_e32 v30, v30, v39
	v_add_f16_e32 v37, v37, v41
	v_fma_f16 v23, v30, -0.5, v23
	v_sub_f16_e32 v30, v50, v41
	v_add_f16_e32 v41, v48, v20
	v_add_f16_e32 v38, v38, v39
	v_fma_f16 v39, v30, s7, v23
	v_fma_f16 v30, v30, s6, v23
	v_add_f16_e32 v23, v26, v48
	v_fma_f16 v26, v41, -0.5, v26
	v_sub_f16_e32 v41, v12, v13
	v_fma_f16 v42, v41, s6, v26
	v_fma_f16 v26, v41, s7, v26
	v_add_f16_e32 v41, v33, v12
	v_add_f16_e32 v12, v12, v13
	;; [unrolled: 1-line block ×3, first 2 shown]
	v_fma_f16 v12, v12, -0.5, v33
	v_sub_f16_e32 v13, v48, v20
	v_fma_f16 v33, v13, s7, v12
	v_fma_f16 v44, v13, s6, v12
	v_add_f16_e32 v13, v22, v21
	v_add_f16_e32 v23, v23, v20
	v_fma_f16 v13, v13, -0.5, v27
	v_sub_f16_e32 v20, v14, v15
	v_add_f16_e32 v12, v27, v22
	v_fma_f16 v27, v20, s6, v13
	v_fma_f16 v13, v20, s7, v13
	v_add_f16_e32 v20, v34, v14
	v_add_f16_e32 v14, v14, v15
	;; [unrolled: 1-line block ×3, first 2 shown]
	v_fma_f16 v14, v14, -0.5, v34
	v_sub_f16_e32 v15, v22, v21
	v_fma_f16 v34, v15, s7, v14
	v_fma_f16 v46, v15, s6, v14
	v_add_f16_e32 v15, v24, v29
	v_fma_f16 v15, v15, -0.5, v28
	v_sub_f16_e32 v20, v16, v17
	v_add_f16_e32 v12, v12, v21
	v_fma_f16 v21, v20, s6, v15
	v_fma_f16 v15, v20, s7, v15
	v_add_f16_e32 v20, v36, v16
	v_add_f16_e32 v16, v16, v17
	v_add_f16_e32 v14, v28, v24
	v_add_f16_e32 v28, v20, v17
	v_fma_f16 v16, v16, -0.5, v36
	v_sub_f16_e32 v17, v24, v29
	v_add_f16_e32 v14, v14, v29
	v_fma_f16 v29, v17, s7, v16
	v_fma_f16 v36, v17, s6, v16
	v_add_f16_e32 v17, v32, v35
	v_fma_f16 v17, v17, -0.5, v31
	v_sub_f16_e32 v20, v10, v11
	v_add_f16_e32 v16, v31, v32
	v_fma_f16 v22, v20, s6, v17
	v_fma_f16 v17, v20, s7, v17
	v_add_f16_e32 v20, v43, v10
	v_add_f16_e32 v10, v10, v11
	;; [unrolled: 1-line block ×4, first 2 shown]
	v_fma_f16 v10, v10, -0.5, v43
	v_sub_f16_e32 v11, v32, v35
	ds_write_b16 v0, v37
	ds_write_b16 v0, v40 offset:234
	ds_write_b16 v0, v25 offset:468
	;; [unrolled: 1-line block ×5, first 2 shown]
	v_lshl_add_u32 v25, v18, 1, 0
	v_lshl_add_u32 v26, v19, 1, 0
	v_fma_f16 v32, v11, s7, v10
	v_fma_f16 v35, v11, s6, v10
	ds_write_b16 v5, v12 offset:1404
	ds_write_b16 v5, v27 offset:1638
	;; [unrolled: 1-line block ×9, first 2 shown]
	s_waitcnt lgkmcnt(0)
	s_barrier
	ds_read_u16 v10, v0
	ds_read_u16 v15, v0 offset:234
	ds_read_u16 v18, v0 offset:936
	;; [unrolled: 1-line block ×14, first 2 shown]
	s_waitcnt lgkmcnt(0)
	s_barrier
	ds_write_b16 v0, v38
	ds_write_b16 v0, v39 offset:234
	ds_write_b16 v0, v30 offset:468
	;; [unrolled: 1-line block ×14, first 2 shown]
	s_waitcnt lgkmcnt(0)
	s_barrier
	s_and_saveexec_b64 s[0:1], vcc
	s_cbranch_execz .LBB0_21
; %bb.20:
	v_lshlrev_b32_e32 v5, 2, v9
	v_lshlrev_b64 v[25:26], 2, v[5:6]
	v_mov_b32_e32 v9, s13
	v_add_co_u32_e32 v25, vcc, s12, v25
	v_addc_co_u32_e32 v26, vcc, v9, v26, vcc
	global_load_dwordx4 v[25:28], v[25:26], off offset:1352
	v_lshlrev_b32_e32 v5, 2, v8
	v_mul_lo_u32 v29, s5, v3
	v_mul_lo_u32 v30, s4, v4
	v_mad_u64_u32 v[33:34], s[0:1], s4, v3, 0
	ds_read_u16 v35, v0 offset:1872
	v_lshlrev_b64 v[3:4], 2, v[5:6]
	ds_read_u16 v36, v0 offset:1638
	ds_read_u16 v37, v0 offset:1404
	ds_read_u16 v38, v0 offset:1170
	ds_read_u16 v39, v0 offset:936
	ds_read_u16 v40, v0 offset:702
	ds_read_u16 v41, v0 offset:468
	ds_read_u16 v42, v0 offset:234
	ds_read_u16 v43, v0 offset:3276
	ds_read_u16 v44, v0 offset:3042
	ds_read_u16 v45, v0 offset:2808
	ds_read_u16 v46, v0 offset:2574
	ds_read_u16 v47, v0 offset:2340
	ds_read_u16 v48, v0 offset:2106
	v_add_co_u32_e32 v3, vcc, s12, v3
	v_addc_co_u32_e32 v4, vcc, v9, v4, vcc
	v_add3_u32 v34, v34, v30, v29
	global_load_dwordx4 v[29:32], v[3:4], off offset:1352
	s_movk_i32 s1, 0x3b9c
	s_mov_b32 s5, 0xbb9c
	s_movk_i32 s4, 0x38b4
	s_mov_b32 s6, 0xb8b4
	s_movk_i32 s0, 0x34f2
	ds_read_u16 v0, v0
	s_waitcnt vmcnt(1)
	v_mul_f16_sdwa v3, v21, v25 dst_sel:DWORD dst_unused:UNUSED_PAD src0_sel:DWORD src1_sel:WORD_1
	v_mul_f16_sdwa v4, v24, v26 dst_sel:DWORD dst_unused:UNUSED_PAD src0_sel:DWORD src1_sel:WORD_1
	;; [unrolled: 1-line block ×4, first 2 shown]
	s_waitcnt lgkmcnt(14)
	v_mul_f16_sdwa v49, v35, v26 dst_sel:DWORD dst_unused:UNUSED_PAD src0_sel:DWORD src1_sel:WORD_1
	s_waitcnt lgkmcnt(3)
	v_mul_f16_sdwa v50, v46, v27 dst_sel:DWORD dst_unused:UNUSED_PAD src0_sel:DWORD src1_sel:WORD_1
	v_mul_f16_sdwa v51, v38, v25 dst_sel:DWORD dst_unused:UNUSED_PAD src0_sel:DWORD src1_sel:WORD_1
	;; [unrolled: 1-line block ×3, first 2 shown]
	v_fma_f16 v3, v38, v25, v3
	v_fma_f16 v4, v35, v26, v4
	;; [unrolled: 1-line block ×4, first 2 shown]
	v_fma_f16 v24, v24, v26, -v49
	v_fma_f16 v23, v23, v27, -v50
	;; [unrolled: 1-line block ×4, first 2 shown]
	v_sub_f16_e32 v25, v3, v4
	v_sub_f16_e32 v49, v3, v5
	;; [unrolled: 1-line block ×3, first 2 shown]
	v_add_f16_e32 v53, v3, v5
	v_add_f16_e32 v3, v3, v41
	v_sub_f16_e32 v26, v5, v8
	v_add_f16_e32 v35, v4, v8
	v_sub_f16_e32 v38, v21, v24
	v_sub_f16_e32 v43, v22, v23
	;; [unrolled: 1-line block ×3, first 2 shown]
	v_add_f16_e32 v56, v21, v22
	v_add_f16_e32 v3, v4, v3
	v_sub_f16_e32 v28, v21, v22
	v_add_f16_e32 v46, v24, v23
	v_sub_f16_e32 v50, v4, v8
	v_add_f16_e32 v25, v25, v26
	v_fma_f16 v26, v35, -0.5, v41
	v_add_f16_e32 v35, v38, v43
	v_add_f16_e32 v43, v51, v52
	v_fma_f16 v52, v56, -0.5, v20
	v_add_f16_e32 v3, v8, v3
	v_sub_f16_e32 v27, v24, v23
	v_sub_f16_e32 v54, v24, v21
	;; [unrolled: 1-line block ×3, first 2 shown]
	v_fma_f16 v38, v46, -0.5, v20
	v_fma_f16 v46, v53, -0.5, v41
	v_fma_f16 v53, v28, s1, v26
	v_fma_f16 v26, v28, s5, v26
	v_add_f16_e32 v8, v5, v3
	v_fma_f16 v3, v50, s5, v52
	v_add_f16_e32 v51, v54, v55
	v_fma_f16 v53, v27, s4, v53
	v_fma_f16 v26, v27, s6, v26
	;; [unrolled: 1-line block ×3, first 2 shown]
	v_lshlrev_b32_e32 v5, 2, v7
	v_fma_f16 v53, v25, s0, v53
	v_fma_f16 v25, v25, s0, v26
	;; [unrolled: 1-line block ×3, first 2 shown]
	v_lshlrev_b64 v[3:4], 2, v[5:6]
	v_add_f16_e32 v20, v20, v21
	v_add_co_u32_e32 v3, vcc, s12, v3
	v_addc_co_u32_e32 v4, vcc, v9, v4, vcc
	global_load_dwordx4 v[3:6], v[3:4], off offset:1352
	v_add_f16_e32 v20, v20, v24
	v_fma_f16 v54, v49, s5, v38
	v_fma_f16 v55, v27, s5, v46
	;; [unrolled: 1-line block ×4, first 2 shown]
	v_add_f16_e32 v20, v20, v23
	v_fma_f16 v54, v50, s6, v54
	v_fma_f16 v9, v50, s4, v27
	v_add_f16_e32 v20, v22, v20
	s_waitcnt vmcnt(1)
	v_mul_f16_sdwa v21, v18, v29 dst_sel:DWORD dst_unused:UNUSED_PAD src0_sel:DWORD src1_sel:WORD_1
	v_mul_f16_sdwa v22, v17, v30 dst_sel:DWORD dst_unused:UNUSED_PAD src0_sel:DWORD src1_sel:WORD_1
	;; [unrolled: 1-line block ×4, first 2 shown]
	v_fma_f16 v54, v35, s0, v54
	v_fma_f16 v9, v35, s0, v9
	;; [unrolled: 1-line block ×5, first 2 shown]
	s_waitcnt lgkmcnt(2)
	v_fma_f16 v27, v47, v31, v27
	v_mul_f16_sdwa v35, v39, v29 dst_sel:DWORD dst_unused:UNUSED_PAD src0_sel:DWORD src1_sel:WORD_1
	v_fma_f16 v55, v28, s4, v55
	v_fma_f16 v46, v28, s6, v46
	v_sub_f16_e32 v23, v21, v22
	v_sub_f16_e32 v28, v24, v27
	v_fma_f16 v18, v18, v29, -v35
	v_mul_f16_sdwa v29, v44, v32 dst_sel:DWORD dst_unused:UNUSED_PAD src0_sel:DWORD src1_sel:WORD_1
	v_mul_f16_sdwa v35, v36, v30 dst_sel:DWORD dst_unused:UNUSED_PAD src0_sel:DWORD src1_sel:WORD_1
	v_add_f16_e32 v23, v23, v28
	v_add_f16_e32 v28, v22, v27
	v_fma_f16 v19, v19, v32, -v29
	v_fma_f16 v17, v17, v30, -v35
	v_mul_f16_sdwa v30, v47, v31 dst_sel:DWORD dst_unused:UNUSED_PAD src0_sel:DWORD src1_sel:WORD_1
	v_add_f16_e32 v41, v21, v42
	v_fma_f16 v28, v28, -0.5, v42
	v_sub_f16_e32 v29, v18, v19
	v_fma_f16 v16, v16, v31, -v30
	v_sub_f16_e32 v36, v21, v24
	v_sub_f16_e32 v39, v22, v27
	v_add_f16_e32 v41, v22, v41
	v_sub_f16_e32 v22, v22, v21
	v_add_f16_e32 v21, v21, v24
	v_fma_f16 v32, v29, s5, v28
	v_sub_f16_e32 v30, v17, v16
	v_add_f16_e32 v41, v27, v41
	v_add_f16_e32 v44, v15, v18
	v_fma_f16 v21, v21, -0.5, v42
	v_fma_f16 v31, v30, s6, v32
	v_sub_f16_e32 v32, v18, v17
	v_sub_f16_e32 v35, v19, v16
	v_add_f16_e32 v41, v24, v41
	v_add_f16_e32 v44, v44, v17
	v_sub_f16_e32 v27, v27, v24
	v_fma_f16 v24, v30, s5, v21
	v_fma_f16 v21, v30, s1, v21
	v_add_f16_e32 v32, v32, v35
	v_add_f16_e32 v35, v17, v16
	v_add_f16_e32 v44, v44, v16
	v_add_f16_e32 v22, v22, v27
	v_fma_f16 v24, v29, s4, v24
	v_fma_f16 v21, v29, s6, v21
	v_sub_f16_e32 v17, v17, v18
	v_sub_f16_e32 v16, v16, v19
	v_add_f16_e32 v44, v19, v44
	v_fma_f16 v24, v22, s0, v24
	v_fma_f16 v21, v22, s0, v21
	;; [unrolled: 1-line block ×3, first 2 shown]
	v_add_f16_e32 v16, v17, v16
	v_add_f16_e32 v17, v18, v19
	v_fma_f16 v35, v35, -0.5, v15
	v_fma_f16 v22, v30, s4, v22
	v_fma_f16 v15, v17, -0.5, v15
	v_fma_f16 v31, v23, s0, v31
	v_fma_f16 v22, v23, s0, v22
	;; [unrolled: 1-line block ×8, first 2 shown]
	s_waitcnt vmcnt(0)
	v_mul_f16_sdwa v18, v11, v3 dst_sel:DWORD dst_unused:UNUSED_PAD src0_sel:DWORD src1_sel:WORD_1
	v_mul_f16_sdwa v19, v12, v4 dst_sel:DWORD dst_unused:UNUSED_PAD src0_sel:DWORD src1_sel:WORD_1
	;; [unrolled: 1-line block ×4, first 2 shown]
	v_fma_f16 v18, v40, v3, v18
	v_fma_f16 v19, v37, v4, v19
	;; [unrolled: 1-line block ×3, first 2 shown]
	s_waitcnt lgkmcnt(1)
	v_fma_f16 v28, v48, v5, v28
	v_sub_f16_e32 v23, v18, v19
	v_sub_f16_e32 v29, v27, v28
	v_add_f16_e32 v23, v23, v29
	v_mul_f16_sdwa v29, v37, v4 dst_sel:DWORD dst_unused:UNUSED_PAD src0_sel:DWORD src1_sel:WORD_1
	v_fma_f16 v15, v16, s0, v15
	v_fma_f16 v16, v36, s5, v35
	v_fma_f16 v12, v12, v4, -v29
	v_mul_f16_sdwa v4, v48, v5 dst_sel:DWORD dst_unused:UNUSED_PAD src0_sel:DWORD src1_sel:WORD_1
	v_fma_f16 v38, v39, s4, v38
	v_fma_f16 v16, v39, s6, v16
	v_fma_f16 v14, v14, v5, -v4
	v_mul_f16_sdwa v5, v40, v3 dst_sel:DWORD dst_unused:UNUSED_PAD src0_sel:DWORD src1_sel:WORD_1
	v_sub_f16_e32 v37, v19, v18
	v_sub_f16_e32 v39, v28, v27
	v_fma_f16 v5, v11, v3, -v5
	v_mul_f16_sdwa v3, v45, v6 dst_sel:DWORD dst_unused:UNUSED_PAD src0_sel:DWORD src1_sel:WORD_1
	v_add_f16_e32 v37, v37, v39
	v_add_f16_e32 v39, v18, v27
	v_sub_f16_e32 v4, v12, v14
	v_fma_f16 v6, v13, v6, -v3
	v_add_f16_e32 v11, v19, v28
	s_waitcnt lgkmcnt(0)
	v_fma_f16 v39, v39, -0.5, v0
	v_sub_f16_e32 v3, v5, v6
	v_fma_f16 v11, v11, -0.5, v0
	v_sub_f16_e32 v29, v5, v12
	v_sub_f16_e32 v30, v6, v14
	v_fma_f16 v40, v4, s5, v39
	v_sub_f16_e32 v42, v12, v5
	v_sub_f16_e32 v45, v14, v6
	v_fma_f16 v39, v4, s1, v39
	v_fma_f16 v13, v3, s1, v11
	v_add_f16_e32 v29, v29, v30
	v_add_f16_e32 v30, v12, v14
	v_fma_f16 v40, v3, s4, v40
	v_add_f16_e32 v42, v42, v45
	v_add_f16_e32 v45, v5, v6
	v_fma_f16 v39, v3, s6, v39
	v_fma_f16 v3, v3, s5, v11
	;; [unrolled: 1-line block ×4, first 2 shown]
	v_fma_f16 v30, v30, -0.5, v10
	v_sub_f16_e32 v32, v18, v27
	v_sub_f16_e32 v36, v19, v28
	v_fma_f16 v45, v45, -0.5, v10
	v_fma_f16 v3, v4, s6, v3
	v_fma_f16 v56, v50, s1, v52
	;; [unrolled: 1-line block ×7, first 2 shown]
	s_mov_b32 s1, 0x756cac21
	v_fma_f16 v13, v4, s4, v13
	v_mul_hi_u32 v4, v7, s1
	v_fma_f16 v3, v36, s4, v3
	v_fma_f16 v13, v23, s0, v13
	;; [unrolled: 1-line block ×3, first 2 shown]
	v_sub_u32_e32 v3, v7, v4
	v_lshrrev_b32_e32 v3, 1, v3
	v_add_u32_e32 v3, v3, v4
	v_lshrrev_b32_e32 v3, 8, v3
	v_mul_u32_u24_e32 v3, 0x15f, v3
	v_fma_f16 v40, v37, s0, v40
	v_fma_f16 v37, v37, s0, v39
	v_fma_f16 v39, v36, s5, v45
	v_add_f16_e32 v0, v18, v0
	v_sub_u32_e32 v18, v7, v3
	v_fma_f16 v35, v32, s5, v30
	v_fma_f16 v39, v32, s4, v39
	v_mad_u64_u32 v[3:4], s[4:5], s2, v18, 0
	v_add_f16_e32 v0, v19, v0
	v_add_f16_e32 v0, v28, v0
	;; [unrolled: 1-line block ×4, first 2 shown]
	v_mov_b32_e32 v0, v4
	v_mad_u64_u32 v[4:5], s[4:5], s3, v18, v[0:1]
	v_add_f16_e32 v0, v10, v12
	v_add_f16_e32 v0, v0, v14
	v_add_f16_e32 v10, v6, v0
	v_lshlrev_b64 v[5:6], 2, v[33:34]
	v_mov_b32_e32 v0, s11
	v_add_co_u32_e32 v12, vcc, s10, v5
	v_add_u32_e32 v27, 0x15f, v18
	v_addc_co_u32_e32 v14, vcc, v0, v6, vcc
	v_mad_u64_u32 v[5:6], s[4:5], s2, v27, 0
	v_lshlrev_b64 v[0:1], 2, v[1:2]
	v_fma_f16 v39, v42, s0, v39
	v_add_co_u32_e32 v12, vcc, v12, v0
	v_mov_b32_e32 v2, v6
	v_addc_co_u32_e32 v14, vcc, v14, v1, vcc
	v_lshlrev_b64 v[0:1], 2, v[3:4]
	v_mad_u64_u32 v[2:3], s[4:5], s3, v27, v[2:3]
	v_add_co_u32_e32 v0, vcc, v12, v0
	v_addc_co_u32_e32 v1, vcc, v14, v1, vcc
	v_pack_b32_f16 v3, v10, v19
	v_add_u32_e32 v4, 0x2be, v18
	global_store_dword v[0:1], v3, off
	v_mov_b32_e32 v6, v2
	v_mad_u64_u32 v[2:3], s[4:5], s2, v4, 0
	v_add_u32_e32 v10, 0x41d, v18
	v_lshlrev_b64 v[0:1], 2, v[5:6]
	v_mad_u64_u32 v[3:4], s[4:5], s3, v4, v[3:4]
	v_mad_u64_u32 v[4:5], s[4:5], s2, v10, 0
	v_add_co_u32_e32 v0, vcc, v12, v0
	v_addc_co_u32_e32 v1, vcc, v14, v1, vcc
	v_pack_b32_f16 v6, v23, v11
	global_store_dword v[0:1], v6, off
	v_lshlrev_b64 v[0:1], 2, v[2:3]
	v_mov_b32_e32 v2, v5
	v_mad_u64_u32 v[2:3], s[4:5], s3, v10, v[2:3]
	v_add_co_u32_e32 v0, vcc, v12, v0
	v_addc_co_u32_e32 v1, vcc, v14, v1, vcc
	v_pack_b32_f16 v3, v39, v37
	v_mov_b32_e32 v5, v2
	global_store_dword v[0:1], v3, off
	v_lshlrev_b64 v[0:1], 2, v[4:5]
	v_add_u32_e32 v4, 0x57c, v18
	v_mad_u64_u32 v[2:3], s[4:5], s2, v4, 0
	v_fma_f16 v46, v32, s6, v46
	v_fma_f16 v46, v42, s0, v46
	v_mad_u64_u32 v[3:4], s[4:5], s3, v4, v[3:4]
	v_add_u32_e32 v4, 0x75, v7
	v_mul_hi_u32 v6, v4, s1
	v_add_co_u32_e32 v0, vcc, v12, v0
	v_addc_co_u32_e32 v1, vcc, v14, v1, vcc
	v_pack_b32_f16 v5, v46, v40
	global_store_dword v[0:1], v5, off
	v_lshlrev_b64 v[0:1], 2, v[2:3]
	v_sub_u32_e32 v2, v4, v6
	v_lshrrev_b32_e32 v2, 1, v2
	v_add_u32_e32 v2, v2, v6
	v_lshrrev_b32_e32 v2, 8, v2
	v_mul_u32_u24_e32 v3, 0x15f, v2
	v_fma_f16 v56, v49, s6, v56
	v_fma_f16 v35, v36, s6, v35
	v_sub_u32_e32 v3, v4, v3
	s_movk_i32 s6, 0x6db
	v_mad_u32_u24 v6, v2, s6, v3
	v_mad_u64_u32 v[2:3], s[4:5], s2, v6, 0
	v_add_u32_e32 v11, 0x15f, v6
	v_fma_f16 v35, v29, s0, v35
	v_mad_u64_u32 v[3:4], s[4:5], s3, v6, v[3:4]
	v_mad_u64_u32 v[4:5], s[4:5], s2, v11, 0
	v_add_co_u32_e32 v0, vcc, v12, v0
	v_addc_co_u32_e32 v1, vcc, v14, v1, vcc
	v_pack_b32_f16 v10, v35, v13
	global_store_dword v[0:1], v10, off
	v_lshlrev_b64 v[0:1], 2, v[2:3]
	v_mov_b32_e32 v2, v5
	v_mad_u64_u32 v[2:3], s[4:5], s3, v11, v[2:3]
	v_add_co_u32_e32 v0, vcc, v12, v0
	v_addc_co_u32_e32 v1, vcc, v14, v1, vcc
	v_pack_b32_f16 v3, v44, v41
	v_mov_b32_e32 v5, v2
	global_store_dword v[0:1], v3, off
	v_lshlrev_b64 v[0:1], 2, v[4:5]
	v_add_u32_e32 v4, 0x2be, v6
	v_mad_u64_u32 v[2:3], s[4:5], s2, v4, 0
	v_add_u32_e32 v11, 0x41d, v6
	v_add_co_u32_e32 v0, vcc, v12, v0
	v_mad_u64_u32 v[3:4], s[4:5], s3, v4, v[3:4]
	v_mad_u64_u32 v[4:5], s[4:5], s2, v11, 0
	v_addc_co_u32_e32 v1, vcc, v14, v1, vcc
	v_pack_b32_f16 v10, v38, v31
	global_store_dword v[0:1], v10, off
	v_lshlrev_b64 v[0:1], 2, v[2:3]
	v_mov_b32_e32 v2, v5
	v_mad_u64_u32 v[2:3], s[4:5], s3, v11, v[2:3]
	v_add_co_u32_e32 v0, vcc, v12, v0
	v_addc_co_u32_e32 v1, vcc, v14, v1, vcc
	v_pack_b32_f16 v3, v15, v21
	v_mov_b32_e32 v5, v2
	global_store_dword v[0:1], v3, off
	v_lshlrev_b64 v[0:1], 2, v[4:5]
	v_add_u32_e32 v4, 0x57c, v6
	v_mad_u64_u32 v[2:3], s[4:5], s2, v4, 0
	v_add_u32_e32 v5, 0xea, v7
	v_mul_hi_u32 v7, v5, s1
	v_fma_f16 v56, v51, s0, v56
	v_mad_u64_u32 v[3:4], s[0:1], s3, v4, v[3:4]
	v_sub_u32_e32 v4, v5, v7
	v_lshrrev_b32_e32 v4, 1, v4
	v_add_u32_e32 v4, v4, v7
	v_lshrrev_b32_e32 v4, 8, v4
	v_mul_u32_u24_e32 v7, 0x15f, v4
	v_sub_u32_e32 v5, v5, v7
	v_mad_u32_u24 v7, v4, s6, v5
	v_mad_u64_u32 v[4:5], s[0:1], s2, v7, 0
	v_add_co_u32_e32 v0, vcc, v12, v0
	v_addc_co_u32_e32 v1, vcc, v14, v1, vcc
	v_pack_b32_f16 v6, v17, v24
	global_store_dword v[0:1], v6, off
	v_lshlrev_b64 v[0:1], 2, v[2:3]
	v_mov_b32_e32 v2, v5
	v_mad_u64_u32 v[2:3], s[0:1], s3, v7, v[2:3]
	v_add_co_u32_e32 v0, vcc, v12, v0
	v_addc_co_u32_e32 v1, vcc, v14, v1, vcc
	v_pack_b32_f16 v3, v16, v22
	v_mov_b32_e32 v5, v2
	global_store_dword v[0:1], v3, off
	v_lshlrev_b64 v[0:1], 2, v[4:5]
	v_add_u32_e32 v4, 0x15f, v7
	v_mad_u64_u32 v[2:3], s[0:1], s2, v4, 0
	v_pack_b32_f16 v6, v20, v8
	v_add_u32_e32 v8, 0x2be, v7
	v_mad_u64_u32 v[3:4], s[0:1], s3, v4, v[3:4]
	v_mad_u64_u32 v[4:5], s[0:1], s2, v8, 0
	v_add_co_u32_e32 v0, vcc, v12, v0
	v_addc_co_u32_e32 v1, vcc, v14, v1, vcc
	global_store_dword v[0:1], v6, off
	v_lshlrev_b64 v[0:1], 2, v[2:3]
	v_mov_b32_e32 v2, v5
	v_mad_u64_u32 v[2:3], s[0:1], s3, v8, v[2:3]
	v_add_co_u32_e32 v0, vcc, v12, v0
	v_addc_co_u32_e32 v1, vcc, v14, v1, vcc
	v_pack_b32_f16 v3, v9, v25
	v_mov_b32_e32 v5, v2
	global_store_dword v[0:1], v3, off
	v_lshlrev_b64 v[0:1], 2, v[4:5]
	v_add_u32_e32 v4, 0x41d, v7
	v_mad_u64_u32 v[2:3], s[0:1], s2, v4, 0
	v_add_u32_e32 v7, 0x57c, v7
	v_add_co_u32_e32 v0, vcc, v12, v0
	v_mad_u64_u32 v[3:4], s[0:1], s3, v4, v[3:4]
	v_mad_u64_u32 v[4:5], s[0:1], s2, v7, 0
	v_addc_co_u32_e32 v1, vcc, v14, v1, vcc
	v_pack_b32_f16 v6, v26, v43
	global_store_dword v[0:1], v6, off
	v_lshlrev_b64 v[0:1], 2, v[2:3]
	v_mov_b32_e32 v2, v5
	v_mad_u64_u32 v[2:3], s[0:1], s3, v7, v[2:3]
	v_add_co_u32_e32 v0, vcc, v12, v0
	v_addc_co_u32_e32 v1, vcc, v14, v1, vcc
	v_pack_b32_f16 v3, v56, v55
	v_mov_b32_e32 v5, v2
	global_store_dword v[0:1], v3, off
	v_lshlrev_b64 v[0:1], 2, v[4:5]
	v_pack_b32_f16 v2, v54, v53
	v_add_co_u32_e32 v0, vcc, v12, v0
	v_addc_co_u32_e32 v1, vcc, v14, v1, vcc
	global_store_dword v[0:1], v2, off
.LBB0_21:
	s_endpgm
	.section	.rodata,"a",@progbits
	.p2align	6, 0x0
	.amdhsa_kernel fft_rtc_fwd_len1755_factors_13_3_3_3_5_wgs_117_tpt_117_halfLds_half_op_CI_CI_sbrr_dirReg
		.amdhsa_group_segment_fixed_size 0
		.amdhsa_private_segment_fixed_size 0
		.amdhsa_kernarg_size 104
		.amdhsa_user_sgpr_count 6
		.amdhsa_user_sgpr_private_segment_buffer 1
		.amdhsa_user_sgpr_dispatch_ptr 0
		.amdhsa_user_sgpr_queue_ptr 0
		.amdhsa_user_sgpr_kernarg_segment_ptr 1
		.amdhsa_user_sgpr_dispatch_id 0
		.amdhsa_user_sgpr_flat_scratch_init 0
		.amdhsa_user_sgpr_private_segment_size 0
		.amdhsa_uses_dynamic_stack 0
		.amdhsa_system_sgpr_private_segment_wavefront_offset 0
		.amdhsa_system_sgpr_workgroup_id_x 1
		.amdhsa_system_sgpr_workgroup_id_y 0
		.amdhsa_system_sgpr_workgroup_id_z 0
		.amdhsa_system_sgpr_workgroup_info 0
		.amdhsa_system_vgpr_workitem_id 0
		.amdhsa_next_free_vgpr 86
		.amdhsa_next_free_sgpr 49
		.amdhsa_reserve_vcc 1
		.amdhsa_reserve_flat_scratch 0
		.amdhsa_float_round_mode_32 0
		.amdhsa_float_round_mode_16_64 0
		.amdhsa_float_denorm_mode_32 3
		.amdhsa_float_denorm_mode_16_64 3
		.amdhsa_dx10_clamp 1
		.amdhsa_ieee_mode 1
		.amdhsa_fp16_overflow 0
		.amdhsa_exception_fp_ieee_invalid_op 0
		.amdhsa_exception_fp_denorm_src 0
		.amdhsa_exception_fp_ieee_div_zero 0
		.amdhsa_exception_fp_ieee_overflow 0
		.amdhsa_exception_fp_ieee_underflow 0
		.amdhsa_exception_fp_ieee_inexact 0
		.amdhsa_exception_int_div_zero 0
	.end_amdhsa_kernel
	.text
.Lfunc_end0:
	.size	fft_rtc_fwd_len1755_factors_13_3_3_3_5_wgs_117_tpt_117_halfLds_half_op_CI_CI_sbrr_dirReg, .Lfunc_end0-fft_rtc_fwd_len1755_factors_13_3_3_3_5_wgs_117_tpt_117_halfLds_half_op_CI_CI_sbrr_dirReg
                                        ; -- End function
	.section	.AMDGPU.csdata,"",@progbits
; Kernel info:
; codeLenInByte = 14824
; NumSgprs: 53
; NumVgprs: 86
; ScratchSize: 0
; MemoryBound: 0
; FloatMode: 240
; IeeeMode: 1
; LDSByteSize: 0 bytes/workgroup (compile time only)
; SGPRBlocks: 6
; VGPRBlocks: 21
; NumSGPRsForWavesPerEU: 53
; NumVGPRsForWavesPerEU: 86
; Occupancy: 2
; WaveLimiterHint : 1
; COMPUTE_PGM_RSRC2:SCRATCH_EN: 0
; COMPUTE_PGM_RSRC2:USER_SGPR: 6
; COMPUTE_PGM_RSRC2:TRAP_HANDLER: 0
; COMPUTE_PGM_RSRC2:TGID_X_EN: 1
; COMPUTE_PGM_RSRC2:TGID_Y_EN: 0
; COMPUTE_PGM_RSRC2:TGID_Z_EN: 0
; COMPUTE_PGM_RSRC2:TIDIG_COMP_CNT: 0
	.type	__hip_cuid_30c86f7560b27a42,@object ; @__hip_cuid_30c86f7560b27a42
	.section	.bss,"aw",@nobits
	.globl	__hip_cuid_30c86f7560b27a42
__hip_cuid_30c86f7560b27a42:
	.byte	0                               ; 0x0
	.size	__hip_cuid_30c86f7560b27a42, 1

	.ident	"AMD clang version 19.0.0git (https://github.com/RadeonOpenCompute/llvm-project roc-6.4.0 25133 c7fe45cf4b819c5991fe208aaa96edf142730f1d)"
	.section	".note.GNU-stack","",@progbits
	.addrsig
	.addrsig_sym __hip_cuid_30c86f7560b27a42
	.amdgpu_metadata
---
amdhsa.kernels:
  - .args:
      - .actual_access:  read_only
        .address_space:  global
        .offset:         0
        .size:           8
        .value_kind:     global_buffer
      - .offset:         8
        .size:           8
        .value_kind:     by_value
      - .actual_access:  read_only
        .address_space:  global
        .offset:         16
        .size:           8
        .value_kind:     global_buffer
      - .actual_access:  read_only
        .address_space:  global
        .offset:         24
        .size:           8
        .value_kind:     global_buffer
      - .actual_access:  read_only
        .address_space:  global
        .offset:         32
        .size:           8
        .value_kind:     global_buffer
      - .offset:         40
        .size:           8
        .value_kind:     by_value
      - .actual_access:  read_only
        .address_space:  global
        .offset:         48
        .size:           8
        .value_kind:     global_buffer
      - .actual_access:  read_only
        .address_space:  global
        .offset:         56
        .size:           8
        .value_kind:     global_buffer
      - .offset:         64
        .size:           4
        .value_kind:     by_value
      - .actual_access:  read_only
        .address_space:  global
        .offset:         72
        .size:           8
        .value_kind:     global_buffer
      - .actual_access:  read_only
        .address_space:  global
        .offset:         80
        .size:           8
        .value_kind:     global_buffer
      - .actual_access:  read_only
        .address_space:  global
        .offset:         88
        .size:           8
        .value_kind:     global_buffer
      - .actual_access:  write_only
        .address_space:  global
        .offset:         96
        .size:           8
        .value_kind:     global_buffer
    .group_segment_fixed_size: 0
    .kernarg_segment_align: 8
    .kernarg_segment_size: 104
    .language:       OpenCL C
    .language_version:
      - 2
      - 0
    .max_flat_workgroup_size: 117
    .name:           fft_rtc_fwd_len1755_factors_13_3_3_3_5_wgs_117_tpt_117_halfLds_half_op_CI_CI_sbrr_dirReg
    .private_segment_fixed_size: 0
    .sgpr_count:     53
    .sgpr_spill_count: 0
    .symbol:         fft_rtc_fwd_len1755_factors_13_3_3_3_5_wgs_117_tpt_117_halfLds_half_op_CI_CI_sbrr_dirReg.kd
    .uniform_work_group_size: 1
    .uses_dynamic_stack: false
    .vgpr_count:     86
    .vgpr_spill_count: 0
    .wavefront_size: 64
amdhsa.target:   amdgcn-amd-amdhsa--gfx906
amdhsa.version:
  - 1
  - 2
...

	.end_amdgpu_metadata
